;; amdgpu-corpus repo=ROCm/rocFFT kind=compiled arch=gfx1030 opt=O3
	.text
	.amdgcn_target "amdgcn-amd-amdhsa--gfx1030"
	.amdhsa_code_object_version 6
	.protected	bluestein_single_back_len975_dim1_sp_op_CI_CI ; -- Begin function bluestein_single_back_len975_dim1_sp_op_CI_CI
	.globl	bluestein_single_back_len975_dim1_sp_op_CI_CI
	.p2align	8
	.type	bluestein_single_back_len975_dim1_sp_op_CI_CI,@function
bluestein_single_back_len975_dim1_sp_op_CI_CI: ; @bluestein_single_back_len975_dim1_sp_op_CI_CI
; %bb.0:
	s_load_dwordx4 s[12:15], s[4:5], 0x28
	v_mul_u32_u24_e32 v1, 0x691, v0
	s_mov_b64 s[18:19], s[2:3]
	s_mov_b64 s[16:17], s[0:1]
	s_mov_b32 s0, exec_lo
	s_add_u32 s16, s16, s7
	v_lshrrev_b32_e32 v1, 16, v1
	s_addc_u32 s17, s17, 0
	v_mad_u64_u32 v[182:183], null, s6, 3, v[1:2]
	v_mov_b32_e32 v183, 0
	s_waitcnt lgkmcnt(0)
	v_cmpx_gt_u64_e64 s[12:13], v[182:183]
	s_cbranch_execz .LBB0_23
; %bb.1:
	s_clause 0x1
	s_load_dwordx4 s[8:11], s[4:5], 0x18
	s_load_dwordx2 s[6:7], s[4:5], 0x0
	v_mul_lo_u16 v1, v1, 39
	s_mov_b32 s12, 0
	v_sub_nc_u16 v36, v0, v1
	v_and_b32_e32 v187, 0xffff, v36
	v_lshlrev_b32_e32 v136, 3, v187
	s_waitcnt lgkmcnt(0)
	s_load_dwordx4 s[0:3], s[8:9], 0x0
	s_clause 0x3
	global_load_dwordx2 v[201:202], v136, s[6:7]
	global_load_dwordx2 v[195:196], v136, s[6:7] offset:600
	global_load_dwordx2 v[51:52], v136, s[6:7] offset:1200
	;; [unrolled: 1-line block ×3, first 2 shown]
	s_waitcnt lgkmcnt(0)
	v_mad_u64_u32 v[0:1], null, s2, v182, 0
	v_mad_u64_u32 v[2:3], null, s0, v187, 0
	v_add_co_u32 v174, s2, s6, v136
	v_add_co_ci_u32_e64 v175, null, s7, 0, s2
	s_mul_hi_u32 s6, s0, 0x4b
	v_add_co_u32 v172, vcc_lo, 0x800, v174
	v_mad_u64_u32 v[4:5], null, s3, v182, v[1:2]
	v_add_co_ci_u32_e32 v173, vcc_lo, 0, v175, vcc_lo
	v_add_co_u32 v170, vcc_lo, 0x1000, v174
	v_add_co_ci_u32_e32 v171, vcc_lo, 0, v175, vcc_lo
	v_mad_u64_u32 v[5:6], null, s1, v187, v[3:4]
	v_mov_b32_e32 v1, v4
	v_add_co_u32 v30, vcc_lo, 0x1800, v174
	v_add_co_ci_u32_e32 v31, vcc_lo, 0, v175, vcc_lo
	v_lshlrev_b64 v[0:1], 3, v[0:1]
	v_mov_b32_e32 v3, v5
	s_mul_i32 s3, s1, 0x4b
	s_mul_i32 s2, s0, 0x4b
	s_add_i32 s3, s6, s3
	s_clause 0x3
	global_load_dwordx2 v[203:204], v[172:173], off offset:352
	global_load_dwordx2 v[199:200], v[172:173], off offset:952
	;; [unrolled: 1-line block ×4, first 2 shown]
	v_lshlrev_b64 v[2:3], 3, v[2:3]
	v_add_co_u32 v0, vcc_lo, s14, v0
	v_add_co_ci_u32_e32 v1, vcc_lo, s15, v1, vcc_lo
	s_lshl_b64 s[2:3], s[2:3], 3
	v_add_co_u32 v0, vcc_lo, v0, v2
	v_add_co_ci_u32_e32 v1, vcc_lo, v1, v3, vcc_lo
	s_clause 0x2
	global_load_dwordx2 v[41:42], v[170:171], off offset:704
	global_load_dwordx2 v[39:40], v[170:171], off offset:1304
	;; [unrolled: 1-line block ×3, first 2 shown]
	v_add_co_u32 v2, vcc_lo, v0, s2
	v_add_co_ci_u32_e32 v3, vcc_lo, s3, v1, vcc_lo
	s_clause 0x1
	global_load_dwordx2 v[8:9], v[0:1], off
	global_load_dwordx2 v[10:11], v[2:3], off
	v_add_co_u32 v4, vcc_lo, v2, s2
	v_add_co_ci_u32_e32 v5, vcc_lo, s3, v3, vcc_lo
	s_load_dwordx2 s[6:7], s[4:5], 0x38
	v_add_co_u32 v6, vcc_lo, v4, s2
	v_add_co_ci_u32_e32 v7, vcc_lo, s3, v5, vcc_lo
	v_add_co_u32 v0, vcc_lo, v6, s2
	v_add_co_ci_u32_e32 v1, vcc_lo, s3, v7, vcc_lo
	s_clause 0x1
	global_load_dwordx2 v[12:13], v[4:5], off
	global_load_dwordx2 v[6:7], v[6:7], off
	v_add_co_u32 v2, vcc_lo, v0, s2
	v_add_co_ci_u32_e32 v3, vcc_lo, s3, v1, vcc_lo
	global_load_dwordx2 v[14:15], v[0:1], off
	v_add_co_u32 v0, vcc_lo, v2, s2
	v_add_co_ci_u32_e32 v1, vcc_lo, s3, v3, vcc_lo
	;; [unrolled: 3-line block ×7, first 2 shown]
	global_load_dwordx2 v[26:27], v[0:1], off
	global_load_dwordx2 v[43:44], v[30:31], off offset:456
	global_load_dwordx2 v[28:29], v[2:3], off
	buffer_store_dword v30, off, s[16:19], 0 ; 4-byte Folded Spill
	buffer_store_dword v31, off, s[16:19], 0 offset:4 ; 4-byte Folded Spill
	v_add_co_u32 v0, vcc_lo, v2, s2
	v_mul_hi_u32 v2, 0xaaaaaaab, v182
	v_add_co_ci_u32_e32 v1, vcc_lo, s3, v3, vcc_lo
	v_cmp_gt_u16_e32 vcc_lo, 36, v36
	global_load_dwordx2 v[45:46], v[30:31], off offset:1056
	global_load_dwordx2 v[30:31], v[0:1], off
	v_lshrrev_b32_e32 v2, 1, v2
	s_waitcnt vmcnt(14)
	v_mul_f32_e32 v32, v9, v202
	v_mul_f32_e32 v5, v8, v202
	s_waitcnt vmcnt(13)
	v_mul_f32_e32 v34, v11, v196
	v_mul_f32_e32 v35, v10, v196
	v_lshl_add_u32 v2, v2, 1, v2
	v_fmac_f32_e32 v32, v8, v201
	v_fma_f32 v33, v9, v201, -v5
	v_fmac_f32_e32 v34, v10, v195
	v_fma_f32 v35, v11, v195, -v35
	v_sub_nc_u32_e32 v2, v182, v2
	s_waitcnt vmcnt(12)
	v_mul_f32_e32 v8, v13, v52
	s_waitcnt vmcnt(11)
	v_mul_f32_e32 v10, v7, v50
	s_load_dwordx4 s[8:11], s[10:11], 0x0
	v_mul_f32_e32 v9, v12, v52
	v_mul_u32_u24_e32 v137, 0x3cf, v2
	v_fmac_f32_e32 v8, v12, v51
	v_mul_f32_e32 v11, v6, v50
	v_fmac_f32_e32 v10, v6, v49
	s_waitcnt vmcnt(10)
	v_mul_f32_e32 v6, v15, v204
	v_lshlrev_b32_e32 v210, 3, v137
	s_waitcnt vmcnt(9)
	v_mul_f32_e32 v12, v17, v200
	v_fmac_f32_e32 v6, v14, v203
	v_add_nc_u32_e32 v209, v136, v210
	v_fmac_f32_e32 v12, v16, v199
	ds_write2_b64 v209, v[32:33], v[34:35] offset1:75
	buffer_store_dword v51, off, s[16:19], 0 offset:64 ; 4-byte Folded Spill
	buffer_store_dword v52, off, s[16:19], 0 offset:68 ; 4-byte Folded Spill
	;; [unrolled: 1-line block ×4, first 2 shown]
	v_mul_f32_e32 v32, v16, v200
	v_add_nc_u32_e32 v3, 0x800, v209
	s_waitcnt vmcnt(2)
	v_mul_f32_e32 v16, v29, v44
	v_add_nc_u32_e32 v2, 0xc00, v209
	v_add_nc_u32_e32 v4, 0x1000, v209
	v_add_nc_u32_e32 v5, 0x1400, v209
	v_fmac_f32_e32 v16, v28, v43
	v_fma_f32 v9, v13, v51, -v9
	v_mul_f32_e32 v13, v14, v204
	v_fma_f32 v11, v7, v49, -v11
	v_mul_f32_e32 v14, v27, v38
	v_fma_f32 v7, v15, v203, -v13
	v_fma_f32 v13, v17, v199, -v32
	ds_write2_b64 v209, v[8:9], v[10:11] offset0:150 offset1:225
	v_mul_f32_e32 v10, v21, v48
	v_mul_f32_e32 v8, v19, v198
	;; [unrolled: 1-line block ×3, first 2 shown]
	ds_write2_b64 v3, v[6:7], v[12:13] offset0:44 offset1:119
	v_mul_f32_e32 v7, v20, v48
	v_fmac_f32_e32 v10, v20, v47
	buffer_store_dword v47, off, s[16:19], 0 offset:48 ; 4-byte Folded Spill
	buffer_store_dword v48, off, s[16:19], 0 offset:52 ; 4-byte Folded Spill
	v_mul_f32_e32 v6, v23, v42
	v_mul_f32_e32 v12, v25, v40
	v_fmac_f32_e32 v8, v18, v197
	s_waitcnt vmcnt(0)
	v_mul_f32_e32 v18, v31, v46
	v_mul_f32_e32 v13, v24, v40
	v_fmac_f32_e32 v6, v22, v41
	v_fmac_f32_e32 v12, v24, v39
	v_mul_f32_e32 v15, v26, v38
	v_fmac_f32_e32 v14, v26, v37
	v_mul_f32_e32 v17, v28, v44
	v_fma_f32 v9, v19, v197, -v9
	v_mul_f32_e32 v19, v30, v46
	v_fmac_f32_e32 v18, v30, v45
	v_fma_f32 v11, v21, v47, -v7
	v_mul_f32_e32 v7, v22, v42
	buffer_store_dword v41, off, s[16:19], 0 offset:24 ; 4-byte Folded Spill
	buffer_store_dword v42, off, s[16:19], 0 offset:28 ; 4-byte Folded Spill
	;; [unrolled: 1-line block ×10, first 2 shown]
	v_fma_f32 v7, v23, v41, -v7
	v_fma_f32 v13, v25, v39, -v13
	;; [unrolled: 1-line block ×5, first 2 shown]
	ds_write2_b64 v2, v[8:9], v[10:11] offset0:66 offset1:141
	ds_write2_b64 v4, v[6:7], v[12:13] offset0:88 offset1:163
	;; [unrolled: 1-line block ×3, first 2 shown]
	ds_write_b64 v209, v[18:19] offset:7200
	s_and_saveexec_b32 s13, vcc_lo
	s_cbranch_execz .LBB0_3
; %bb.2:
	v_mad_u64_u32 v[0:1], null, 0xffffe518, s0, v[0:1]
	s_mulk_i32 s1, 0xe518
	s_clause 0x2
	global_load_dwordx2 v[10:11], v[174:175], off offset:312
	global_load_dwordx2 v[12:13], v[174:175], off offset:912
	;; [unrolled: 1-line block ×3, first 2 shown]
	s_sub_i32 s0, s1, s0
	global_load_dwordx2 v[18:19], v[172:173], off offset:64
	v_add_nc_u32_e32 v58, 0x400, v209
	v_add_nc_u32_e32 v59, 0x1800, v209
	;; [unrolled: 1-line block ×3, first 2 shown]
	v_add_co_u32 v6, s0, v0, s2
	v_add_co_ci_u32_e64 v7, s0, s3, v1, s0
	v_add_co_u32 v8, s0, v6, s2
	global_load_dwordx2 v[0:1], v[0:1], off
	v_add_co_ci_u32_e64 v9, s0, s3, v7, s0
	v_add_co_u32 v16, s0, v8, s2
	global_load_dwordx2 v[6:7], v[6:7], off
	v_add_co_ci_u32_e64 v17, s0, s3, v9, s0
	v_add_co_u32 v20, s0, v16, s2
	v_add_co_ci_u32_e64 v21, s0, s3, v17, s0
	v_add_co_u32 v22, s0, v20, s2
	;; [unrolled: 2-line block ×3, first 2 shown]
	v_add_co_ci_u32_e64 v25, s0, s3, v23, s0
	global_load_dwordx2 v[8:9], v[8:9], off
	global_load_dwordx2 v[16:17], v[16:17], off
	;; [unrolled: 1-line block ×5, first 2 shown]
	v_add_co_u32 v24, s0, v24, s2
	v_add_co_ci_u32_e64 v25, s0, s3, v25, s0
	s_clause 0x2
	global_load_dwordx2 v[28:29], v[172:173], off offset:664
	global_load_dwordx2 v[30:31], v[172:173], off offset:1264
	;; [unrolled: 1-line block ×3, first 2 shown]
	v_add_co_u32 v34, s0, v24, s2
	v_add_co_ci_u32_e64 v35, s0, s3, v25, s0
	global_load_dwordx2 v[24:25], v[24:25], off
	v_add_co_u32 v36, s0, v34, s2
	v_add_co_ci_u32_e64 v37, s0, s3, v35, s0
	global_load_dwordx2 v[38:39], v[170:171], off offset:416
	v_add_co_u32 v40, s0, v36, s2
	v_add_co_ci_u32_e64 v41, s0, s3, v37, s0
	global_load_dwordx2 v[34:35], v[34:35], off
	global_load_dwordx2 v[36:37], v[36:37], off
	s_clause 0x1
	global_load_dwordx2 v[42:43], v[170:171], off offset:1016
	global_load_dwordx2 v[44:45], v[170:171], off offset:1616
	global_load_dwordx2 v[46:47], v[40:41], off
	s_clause 0x1
	buffer_load_dword v54, off, s[16:19], 0
	buffer_load_dword v55, off, s[16:19], 0 offset:4
	v_add_co_u32 v40, s0, v40, s2
	v_add_co_ci_u32_e64 v41, s0, s3, v41, s0
	v_add_co_u32 v50, s0, v40, s2
	v_add_co_ci_u32_e64 v51, s0, s3, v41, s0
	s_waitcnt vmcnt(18)
	v_mul_f32_e32 v56, v1, v11
	v_mul_f32_e32 v57, v0, v11
	s_waitcnt vmcnt(17)
	v_mul_f32_e32 v11, v7, v13
	v_fmac_f32_e32 v56, v0, v10
	v_fma_f32 v57, v1, v10, -v57
	v_mul_f32_e32 v1, v6, v13
	v_fmac_f32_e32 v11, v6, v12
	v_fma_f32 v12, v7, v12, -v1
	s_waitcnt vmcnt(16)
	v_mul_f32_e32 v0, v9, v15
	v_mul_f32_e32 v10, v8, v15
	s_waitcnt vmcnt(15)
	v_mul_f32_e32 v6, v17, v19
	v_mul_f32_e32 v13, v16, v19
	v_fmac_f32_e32 v0, v8, v14
	v_fma_f32 v1, v9, v14, -v10
	v_fmac_f32_e32 v6, v16, v18
	v_fma_f32 v7, v17, v18, -v13
	s_waitcnt vmcnt(11)
	v_mul_f32_e32 v8, v21, v29
	v_mul_f32_e32 v9, v20, v29
	s_waitcnt vmcnt(10)
	v_mul_f32_e32 v10, v23, v31
	v_fmac_f32_e32 v8, v20, v28
	v_fma_f32 v9, v21, v28, -v9
	v_fmac_f32_e32 v10, v22, v30
	s_waitcnt vmcnt(7)
	v_mul_f32_e32 v13, v24, v39
	s_waitcnt vmcnt(3)
	v_mul_f32_e32 v14, v37, v45
	v_mul_f32_e32 v15, v36, v45
	s_waitcnt vmcnt(0)
	global_load_dwordx2 v[48:49], v[54:55], off offset:168
	global_load_dwordx2 v[40:41], v[40:41], off
	s_clause 0x1
	global_load_dwordx2 v[52:53], v[54:55], off offset:768
	global_load_dwordx2 v[54:55], v[54:55], off offset:1368
	global_load_dwordx2 v[50:51], v[50:51], off
	ds_write2_b64 v58, v[0:1], v[6:7] offset0:61 offset1:136
	v_mul_f32_e32 v1, v22, v31
	v_mul_f32_e32 v7, v26, v33
	;; [unrolled: 1-line block ×4, first 2 shown]
	ds_write2_b64 v209, v[56:57], v[11:12] offset0:39 offset1:114
	v_fma_f32 v11, v23, v30, -v1
	v_fma_f32 v1, v27, v32, -v7
	v_mul_f32_e32 v12, v35, v43
	v_fma_f32 v7, v25, v38, -v13
	v_mul_f32_e32 v13, v34, v43
	v_fmac_f32_e32 v0, v26, v32
	v_fmac_f32_e32 v6, v24, v38
	;; [unrolled: 1-line block ×4, first 2 shown]
	v_fma_f32 v13, v35, v42, -v13
	v_fma_f32 v15, v37, v44, -v15
	s_waitcnt vmcnt(2)
	v_mul_f32_e32 v18, v41, v53
	v_mul_f32_e32 v16, v47, v49
	;; [unrolled: 1-line block ×4, first 2 shown]
	s_waitcnt vmcnt(0)
	v_mul_f32_e32 v20, v51, v55
	v_mul_f32_e32 v21, v50, v55
	v_fmac_f32_e32 v16, v46, v48
	v_fma_f32 v17, v47, v48, -v17
	v_fmac_f32_e32 v18, v40, v52
	v_fma_f32 v19, v41, v52, -v19
	;; [unrolled: 2-line block ×3, first 2 shown]
	ds_write2_b64 v3, v[8:9], v[10:11] offset0:83 offset1:158
	ds_write2_b64 v2, v[0:1], v[6:7] offset0:105 offset1:180
	;; [unrolled: 1-line block ×4, first 2 shown]
	ds_write_b64 v209, v[20:21] offset:7512
.LBB0_3:
	s_or_b32 exec_lo, exec_lo, s13
	s_waitcnt lgkmcnt(0)
	s_waitcnt_vscnt null, 0x0
	s_barrier
	buffer_gl0_inv
	ds_read2_b64 v[44:47], v209 offset1:75
	ds_read2_b64 v[36:39], v209 offset0:150 offset1:225
	ds_read2_b64 v[28:31], v3 offset0:44 offset1:119
	;; [unrolled: 1-line block ×5, first 2 shown]
	ds_read_b64 v[50:51], v209 offset:7200
	s_load_dwordx2 s[4:5], s[4:5], 0x8
	v_mov_b32_e32 v0, 0
	v_mov_b32_e32 v1, 0
	;; [unrolled: 1-line block ×3, first 2 shown]
                                        ; implicit-def: $vgpr14
                                        ; implicit-def: $vgpr8
                                        ; implicit-def: $vgpr4
                                        ; implicit-def: $vgpr48
                                        ; implicit-def: $vgpr18
                                        ; implicit-def: $vgpr22
	s_and_saveexec_b32 s0, vcc_lo
	s_cbranch_execz .LBB0_5
; %bb.4:
	v_add_nc_u32_e32 v4, 0x400, v209
	v_add_nc_u32_e32 v5, 0x800, v209
	;; [unrolled: 1-line block ×5, first 2 shown]
	ds_read2_b64 v[0:3], v209 offset0:39 offset1:114
	ds_read2_b64 v[20:23], v4 offset0:61 offset1:136
	;; [unrolled: 1-line block ×6, first 2 shown]
	ds_read_b64 v[48:49], v209 offset:7512
.LBB0_5:
	s_or_b32 exec_lo, exec_lo, s0
	s_waitcnt lgkmcnt(0)
	v_add_f32_e32 v52, v44, v46
	v_add_f32_e32 v53, v45, v47
	;; [unrolled: 1-line block ×3, first 2 shown]
	v_sub_f32_e32 v56, v47, v51
	v_sub_f32_e32 v57, v46, v50
	v_add_f32_e32 v54, v52, v36
	v_add_f32_e32 v53, v53, v37
	;; [unrolled: 1-line block ×3, first 2 shown]
	v_mul_f32_e32 v61, 0xbf7e222b, v56
	v_sub_f32_e32 v76, v37, v43
	v_add_f32_e32 v54, v54, v38
	v_add_f32_e32 v53, v53, v39
	v_mul_f32_e32 v59, 0xbf52af12, v56
	v_mul_f32_e32 v60, 0xbf52af12, v57
	;; [unrolled: 1-line block ×3, first 2 shown]
	v_add_f32_e32 v46, v54, v28
	v_add_f32_e32 v47, v53, v29
	v_mul_f32_e32 v53, 0xbeedf032, v56
	v_mul_f32_e32 v54, 0xbeedf032, v57
	;; [unrolled: 1-line block ×3, first 2 shown]
	v_add_f32_e32 v46, v46, v30
	v_add_f32_e32 v47, v47, v31
	v_fma_f32 v64, 0x3f62ad3f, v55, -v53
	v_fma_f32 v68, 0x3df6dbef, v55, -v61
	v_mul_f32_e32 v69, 0xbf6f5d39, v57
	v_add_f32_e32 v46, v46, v24
	v_add_f32_e32 v47, v47, v25
	v_mul_f32_e32 v70, 0xbf29c268, v56
	v_mul_f32_e32 v72, 0xbf29c268, v57
	v_mul_f32_e32 v56, 0xbe750f2a, v56
	v_add_f32_e32 v46, v46, v26
	v_add_f32_e32 v47, v47, v27
	v_mul_f32_e32 v57, 0xbe750f2a, v57
	v_add_f32_e32 v78, v42, v36
	v_mul_f32_e32 v79, 0xbf52af12, v76
	v_add_f32_e32 v46, v46, v32
	v_add_f32_e32 v47, v47, v33
	v_sub_f32_e32 v36, v36, v42
	v_fmamk_f32 v65, v58, 0x3f62ad3f, v54
	v_fmac_f32_e32 v53, 0x3f62ad3f, v55
	v_add_f32_e32 v46, v46, v34
	v_add_f32_e32 v47, v47, v35
	v_fma_f32 v54, 0x3f62ad3f, v58, -v54
	v_fma_f32 v66, 0x3f116cb1, v55, -v59
	v_fmamk_f32 v67, v58, 0x3f116cb1, v60
	v_add_f32_e32 v46, v46, v40
	v_add_f32_e32 v47, v47, v41
	v_fmac_f32_e32 v59, 0x3f116cb1, v55
	v_fma_f32 v60, 0x3f116cb1, v58, -v60
	v_add_f32_e32 v64, v44, v64
	v_add_f32_e32 v46, v46, v42
	;; [unrolled: 1-line block ×3, first 2 shown]
	v_fmac_f32_e32 v61, 0x3df6dbef, v55
	v_fmamk_f32 v71, v58, 0xbeb58ec6, v69
	v_fma_f32 v69, 0xbeb58ec6, v58, -v69
	v_add_f32_e32 v46, v46, v50
	v_add_f32_e32 v47, v47, v51
	v_fmamk_f32 v50, v58, 0x3df6dbef, v62
	v_add_f32_e32 v51, v44, v68
	v_fma_f32 v62, 0x3df6dbef, v58, -v62
	v_fma_f32 v68, 0xbeb58ec6, v55, -v63
	v_fmac_f32_e32 v63, 0xbeb58ec6, v55
	v_fma_f32 v73, 0xbf3f9e67, v55, -v70
	v_fmamk_f32 v74, v58, 0xbf3f9e67, v72
	v_fmac_f32_e32 v70, 0xbf3f9e67, v55
	v_fma_f32 v72, 0xbf3f9e67, v58, -v72
	v_fma_f32 v75, 0xbf788fa5, v55, -v56
	v_fmamk_f32 v77, v58, 0xbf788fa5, v57
	v_fmac_f32_e32 v56, 0xbf788fa5, v55
	v_fma_f32 v42, 0xbf788fa5, v58, -v57
	v_fma_f32 v55, 0x3f116cb1, v78, -v79
	v_add_f32_e32 v37, v43, v37
	v_mul_f32_e32 v43, 0xbf52af12, v36
	v_add_f32_e32 v65, v45, v65
	v_add_f32_e32 v53, v44, v53
	;; [unrolled: 1-line block ×23, first 2 shown]
	v_mul_f32_e32 v55, 0xbf6f5d39, v76
	v_fmamk_f32 v56, v37, 0x3f116cb1, v43
	v_fma_f32 v43, 0x3f116cb1, v37, -v43
	v_mul_f32_e32 v57, 0xbf6f5d39, v36
	v_mul_f32_e32 v64, 0xbe750f2a, v76
	v_fma_f32 v58, 0xbeb58ec6, v78, -v55
	v_add_f32_e32 v56, v56, v65
	v_add_f32_e32 v43, v43, v54
	v_fmamk_f32 v54, v37, 0xbeb58ec6, v57
	v_fmac_f32_e32 v55, 0xbeb58ec6, v78
	v_fma_f32 v57, 0xbeb58ec6, v37, -v57
	v_mul_f32_e32 v65, 0xbe750f2a, v36
	v_add_f32_e32 v58, v58, v66
	v_fma_f32 v66, 0xbf788fa5, v78, -v64
	v_add_f32_e32 v55, v55, v59
	v_add_f32_e32 v57, v57, v60
	v_mul_f32_e32 v59, 0x3f29c268, v76
	v_fmamk_f32 v60, v37, 0xbf788fa5, v65
	v_fma_f32 v65, 0xbf788fa5, v37, -v65
	v_add_f32_e32 v51, v66, v51
	v_fmac_f32_e32 v64, 0xbf788fa5, v78
	v_fma_f32 v66, 0xbf3f9e67, v78, -v59
	v_add_f32_e32 v54, v54, v67
	v_add_f32_e32 v62, v65, v62
	v_mul_f32_e32 v65, 0x3f7e222b, v76
	v_add_f32_e32 v50, v60, v50
	v_mul_f32_e32 v60, 0x3f29c268, v36
	v_add_f32_e32 v61, v64, v61
	v_add_f32_e32 v64, v66, v68
	v_fmac_f32_e32 v59, 0xbf3f9e67, v78
	v_mul_f32_e32 v67, 0x3f7e222b, v36
	v_fma_f32 v68, 0x3df6dbef, v78, -v65
	v_fmac_f32_e32 v65, 0x3df6dbef, v78
	v_fmamk_f32 v66, v37, 0xbf3f9e67, v60
	v_fma_f32 v60, 0xbf3f9e67, v37, -v60
	v_add_f32_e32 v59, v59, v63
	v_fmamk_f32 v63, v37, 0x3df6dbef, v67
	v_fma_f32 v67, 0x3df6dbef, v37, -v67
	v_add_f32_e32 v65, v65, v70
	v_sub_f32_e32 v70, v39, v41
	v_add_f32_e32 v60, v60, v69
	v_mul_f32_e32 v69, 0x3eedf032, v76
	v_add_f32_e32 v63, v63, v74
	v_mul_f32_e32 v36, 0x3eedf032, v36
	v_add_f32_e32 v67, v67, v72
	v_add_f32_e32 v72, v40, v38
	v_mul_f32_e32 v74, 0xbf7e222b, v70
	v_sub_f32_e32 v38, v38, v40
	v_add_f32_e32 v66, v66, v71
	v_add_f32_e32 v68, v68, v73
	v_fma_f32 v71, 0x3f62ad3f, v78, -v69
	v_fmamk_f32 v73, v37, 0x3f62ad3f, v36
	v_fmac_f32_e32 v69, 0x3f62ad3f, v78
	v_fma_f32 v36, 0x3f62ad3f, v37, -v36
	v_fma_f32 v37, 0x3df6dbef, v72, -v74
	v_add_f32_e32 v39, v41, v39
	v_mul_f32_e32 v40, 0xbf7e222b, v38
	v_add_f32_e32 v41, v69, v44
	v_add_f32_e32 v36, v36, v42
	;; [unrolled: 1-line block ×3, first 2 shown]
	v_mul_f32_e32 v42, 0xbe750f2a, v70
	v_fmamk_f32 v44, v39, 0x3df6dbef, v40
	v_fma_f32 v40, 0x3df6dbef, v39, -v40
	v_mul_f32_e32 v45, 0xbe750f2a, v38
	v_fmac_f32_e32 v79, 0x3f116cb1, v78
	v_fma_f32 v69, 0xbf788fa5, v72, -v42
	v_add_f32_e32 v44, v44, v56
	v_add_f32_e32 v40, v40, v43
	v_fmamk_f32 v43, v39, 0xbf788fa5, v45
	v_fmac_f32_e32 v42, 0xbf788fa5, v72
	v_add_f32_e32 v56, v69, v58
	v_mul_f32_e32 v58, 0x3f6f5d39, v70
	v_fma_f32 v45, 0xbf788fa5, v39, -v45
	v_add_f32_e32 v43, v43, v54
	v_mul_f32_e32 v54, 0x3f6f5d39, v38
	v_add_f32_e32 v42, v42, v55
	v_fma_f32 v69, 0xbeb58ec6, v72, -v58
	v_add_f32_e32 v45, v45, v57
	v_mul_f32_e32 v55, 0x3eedf032, v70
	v_fmamk_f32 v57, v39, 0xbeb58ec6, v54
	v_fmac_f32_e32 v58, 0xbeb58ec6, v72
	v_add_f32_e32 v51, v69, v51
	v_fma_f32 v54, 0xbeb58ec6, v39, -v54
	v_fma_f32 v69, 0x3f62ad3f, v72, -v55
	v_add_f32_e32 v50, v57, v50
	v_mul_f32_e32 v57, 0x3eedf032, v38
	v_add_f32_e32 v53, v79, v53
	v_fmac_f32_e32 v74, 0x3df6dbef, v72
	v_add_f32_e32 v58, v58, v61
	v_add_f32_e32 v54, v54, v62
	;; [unrolled: 1-line block ×3, first 2 shown]
	v_mul_f32_e32 v62, 0xbf52af12, v70
	v_fmamk_f32 v64, v39, 0x3f62ad3f, v57
	v_fmac_f32_e32 v55, 0x3f62ad3f, v72
	v_mul_f32_e32 v69, 0xbf52af12, v38
	v_add_f32_e32 v53, v74, v53
	v_fma_f32 v57, 0x3f62ad3f, v39, -v57
	v_fma_f32 v74, 0x3f116cb1, v72, -v62
	v_add_f32_e32 v64, v64, v66
	v_add_f32_e32 v55, v55, v59
	v_fmamk_f32 v59, v39, 0x3f116cb1, v69
	v_mul_f32_e32 v66, 0xbf29c268, v70
	v_fmac_f32_e32 v62, 0x3f116cb1, v72
	v_add_f32_e32 v71, v71, v75
	v_add_f32_e32 v57, v57, v60
	;; [unrolled: 1-line block ×4, first 2 shown]
	v_fma_f32 v63, 0x3f116cb1, v39, -v69
	v_fma_f32 v68, 0xbf3f9e67, v72, -v66
	v_add_f32_e32 v62, v62, v65
	v_sub_f32_e32 v65, v29, v35
	v_mul_f32_e32 v38, 0xbf29c268, v38
	v_add_f32_e32 v63, v63, v67
	v_add_f32_e32 v67, v68, v71
	;; [unrolled: 1-line block ×3, first 2 shown]
	v_mul_f32_e32 v70, 0xbf6f5d39, v65
	v_sub_f32_e32 v28, v28, v34
	v_fmamk_f32 v69, v39, 0xbf3f9e67, v38
	v_fmac_f32_e32 v66, 0xbf3f9e67, v72
	v_fma_f32 v34, 0xbf3f9e67, v39, -v38
	v_fma_f32 v38, 0xbeb58ec6, v68, -v70
	v_add_f32_e32 v29, v35, v29
	v_mul_f32_e32 v35, 0xbf6f5d39, v28
	v_add_f32_e32 v39, v66, v41
	v_add_f32_e32 v34, v34, v36
	v_add_f32_e32 v36, v38, v37
	v_mul_f32_e32 v37, 0x3f29c268, v65
	v_fmamk_f32 v38, v29, 0xbeb58ec6, v35
	v_fma_f32 v35, 0xbeb58ec6, v29, -v35
	v_mul_f32_e32 v41, 0x3f29c268, v28
	v_fmac_f32_e32 v70, 0xbeb58ec6, v68
	v_fma_f32 v66, 0xbf3f9e67, v68, -v37
	v_add_f32_e32 v38, v38, v44
	v_add_f32_e32 v35, v35, v40
	v_fmamk_f32 v40, v29, 0xbf3f9e67, v41
	v_add_f32_e32 v44, v70, v53
	v_add_f32_e32 v53, v66, v56
	v_mul_f32_e32 v56, 0x3eedf032, v65
	v_fmac_f32_e32 v37, 0xbf3f9e67, v68
	v_fma_f32 v41, 0xbf3f9e67, v29, -v41
	v_add_f32_e32 v40, v40, v43
	v_mul_f32_e32 v43, 0x3eedf032, v28
	v_fma_f32 v66, 0x3f62ad3f, v68, -v56
	v_add_f32_e32 v37, v37, v42
	v_add_f32_e32 v41, v41, v45
	v_mul_f32_e32 v42, 0xbf7e222b, v65
	v_fmamk_f32 v45, v29, 0x3f62ad3f, v43
	v_fmac_f32_e32 v56, 0x3f62ad3f, v68
	v_add_f32_e32 v51, v66, v51
	v_fma_f32 v43, 0x3f62ad3f, v29, -v43
	v_fma_f32 v66, 0x3df6dbef, v68, -v42
	v_add_f32_e32 v45, v45, v50
	v_mul_f32_e32 v50, 0xbf7e222b, v28
	v_add_f32_e32 v56, v56, v58
	v_mul_f32_e32 v58, 0x3e750f2a, v65
	v_add_f32_e32 v43, v43, v54
	v_add_f32_e32 v54, v66, v61
	v_fmamk_f32 v61, v29, 0x3df6dbef, v50
	v_fmac_f32_e32 v42, 0x3df6dbef, v68
	v_mul_f32_e32 v66, 0x3e750f2a, v28
	v_fma_f32 v50, 0x3df6dbef, v29, -v50
	v_fma_f32 v70, 0xbf788fa5, v68, -v58
	v_fmac_f32_e32 v58, 0xbf788fa5, v68
	v_add_f32_e32 v42, v42, v55
	v_fmamk_f32 v55, v29, 0xbf788fa5, v66
	v_add_f32_e32 v50, v50, v57
	v_add_f32_e32 v57, v70, v60
	v_mul_f32_e32 v60, 0x3f52af12, v65
	v_add_f32_e32 v61, v61, v64
	v_add_f32_e32 v55, v55, v59
	v_mul_f32_e32 v28, 0x3f52af12, v28
	v_fma_f32 v59, 0xbf788fa5, v29, -v66
	v_fma_f32 v64, 0x3f116cb1, v68, -v60
	v_add_f32_e32 v58, v58, v62
	v_sub_f32_e32 v62, v31, v33
	v_fmamk_f32 v65, v29, 0x3f116cb1, v28
	v_add_f32_e32 v59, v59, v63
	v_add_f32_e32 v63, v64, v67
	;; [unrolled: 1-line block ×3, first 2 shown]
	v_mul_f32_e32 v66, 0xbf29c268, v62
	v_sub_f32_e32 v30, v30, v32
	v_fma_f32 v28, 0x3f116cb1, v29, -v28
	v_fmac_f32_e32 v60, 0x3f116cb1, v68
	v_add_f32_e32 v31, v33, v31
	v_fma_f32 v29, 0xbf3f9e67, v64, -v66
	v_mul_f32_e32 v32, 0xbf29c268, v30
	v_add_f32_e32 v28, v28, v34
	v_mul_f32_e32 v34, 0x3f7e222b, v62
	v_add_f32_e32 v33, v60, v39
	v_add_f32_e32 v29, v29, v36
	v_fmamk_f32 v36, v31, 0xbf3f9e67, v32
	v_fmac_f32_e32 v66, 0xbf3f9e67, v64
	v_fma_f32 v32, 0xbf3f9e67, v31, -v32
	v_mul_f32_e32 v39, 0x3f7e222b, v30
	v_fma_f32 v60, 0x3df6dbef, v64, -v34
	v_add_f32_e32 v36, v36, v38
	v_add_f32_e32 v38, v66, v44
	;; [unrolled: 1-line block ×3, first 2 shown]
	v_fmamk_f32 v35, v31, 0x3df6dbef, v39
	v_add_f32_e32 v44, v60, v53
	v_mul_f32_e32 v53, 0xbf52af12, v62
	v_fmac_f32_e32 v34, 0x3df6dbef, v64
	v_fma_f32 v39, 0x3df6dbef, v31, -v39
	v_add_f32_e32 v35, v35, v40
	v_mul_f32_e32 v40, 0xbf52af12, v30
	v_fma_f32 v60, 0x3f116cb1, v64, -v53
	v_add_f32_e32 v34, v34, v37
	v_add_f32_e32 v37, v39, v41
	v_mul_f32_e32 v39, 0x3e750f2a, v62
	v_fmamk_f32 v41, v31, 0x3f116cb1, v40
	v_add_f32_e32 v51, v60, v51
	v_fma_f32 v40, 0x3f116cb1, v31, -v40
	v_fmac_f32_e32 v53, 0x3f116cb1, v64
	v_fma_f32 v60, 0xbf788fa5, v64, -v39
	v_add_f32_e32 v41, v41, v45
	v_mul_f32_e32 v45, 0x3e750f2a, v30
	v_add_f32_e32 v40, v40, v43
	v_add_f32_e32 v53, v53, v56
	v_add_f32_e32 v43, v60, v54
	v_mul_f32_e32 v54, 0x3eedf032, v62
	v_fmamk_f32 v56, v31, 0xbf788fa5, v45
	v_fmac_f32_e32 v39, 0xbf788fa5, v64
	v_mul_f32_e32 v60, 0x3eedf032, v30
	v_fma_f32 v45, 0xbf788fa5, v31, -v45
	v_fma_f32 v66, 0x3f62ad3f, v64, -v54
	v_fmac_f32_e32 v54, 0x3f62ad3f, v64
	v_add_f32_e32 v39, v39, v42
	v_fmamk_f32 v42, v31, 0x3f62ad3f, v60
	v_add_f32_e32 v45, v45, v50
	v_add_f32_e32 v50, v66, v57
	v_mul_f32_e32 v57, 0xbf6f5d39, v62
	v_add_f32_e32 v54, v54, v58
	v_add_f32_e32 v42, v42, v55
	v_fma_f32 v55, 0x3f62ad3f, v31, -v60
	v_sub_f32_e32 v58, v25, v27
	v_fma_f32 v60, 0xbeb58ec6, v64, -v57
	v_mul_f32_e32 v30, 0xbf6f5d39, v30
	v_add_f32_e32 v56, v56, v61
	v_add_f32_e32 v55, v55, v59
	v_mul_f32_e32 v62, 0xbe750f2a, v58
	v_add_f32_e32 v59, v60, v63
	v_add_f32_e32 v60, v26, v24
	v_sub_f32_e32 v26, v24, v26
	v_fmamk_f32 v61, v31, 0xbeb58ec6, v30
	v_fma_f32 v24, 0xbeb58ec6, v31, -v30
	v_add_f32_e32 v27, v27, v25
	v_fma_f32 v30, 0xbf788fa5, v60, -v62
	v_mul_f32_e32 v25, 0xbe750f2a, v26
	v_mul_f32_e32 v31, 0x3eedf032, v26
	v_add_f32_e32 v88, v24, v28
	v_fmac_f32_e32 v57, 0xbeb58ec6, v64
	v_add_f32_e32 v24, v30, v29
	v_fmamk_f32 v29, v27, 0xbf788fa5, v25
	v_mul_f32_e32 v28, 0x3eedf032, v58
	v_fma_f32 v30, 0xbf788fa5, v27, -v25
	v_add_f32_e32 v87, v57, v33
	v_add_f32_e32 v73, v73, v77
	;; [unrolled: 1-line block ×3, first 2 shown]
	v_fmamk_f32 v29, v27, 0x3f62ad3f, v31
	v_fma_f32 v33, 0x3f62ad3f, v60, -v28
	v_add_f32_e32 v68, v30, v32
	v_mul_f32_e32 v30, 0xbf29c268, v58
	v_fmac_f32_e32 v28, 0x3f62ad3f, v60
	v_fma_f32 v31, 0x3f62ad3f, v27, -v31
	v_add_f32_e32 v70, v29, v35
	v_mul_f32_e32 v29, 0xbf29c268, v26
	v_fma_f32 v32, 0xbf3f9e67, v60, -v30
	v_add_f32_e32 v71, v28, v34
	v_add_f32_e32 v72, v31, v37
	v_mul_f32_e32 v28, 0x3f52af12, v58
	v_fmamk_f32 v31, v27, 0xbf3f9e67, v29
	v_add_f32_e32 v69, v69, v73
	v_add_f32_e32 v73, v32, v51
	v_fmac_f32_e32 v30, 0xbf3f9e67, v60
	v_fma_f32 v29, 0xbf3f9e67, v27, -v29
	v_fma_f32 v32, 0x3f116cb1, v60, -v28
	v_add_f32_e32 v74, v31, v41
	v_mul_f32_e32 v31, 0x3f52af12, v26
	v_add_f32_e32 v75, v30, v53
	v_add_f32_e32 v76, v29, v40
	;; [unrolled: 1-line block ×3, first 2 shown]
	v_mul_f32_e32 v29, 0xbf6f5d39, v58
	v_fmamk_f32 v30, v27, 0x3f116cb1, v31
	v_mul_f32_e32 v32, 0xbf6f5d39, v26
	v_fmac_f32_e32 v28, 0x3f116cb1, v60
	v_add_f32_e32 v65, v65, v69
	v_add_f32_e32 v69, v33, v44
	v_fma_f32 v33, 0xbeb58ec6, v60, -v29
	v_add_f32_e32 v78, v30, v56
	v_fmamk_f32 v30, v27, 0xbeb58ec6, v32
	v_add_f32_e32 v79, v28, v39
	v_fmac_f32_e32 v29, 0xbeb58ec6, v60
	v_mul_f32_e32 v28, 0x3f7e222b, v26
	v_add_f32_e32 v61, v61, v65
	v_fmac_f32_e32 v62, 0xbf788fa5, v60
	v_add_f32_e32 v82, v30, v42
	v_mul_f32_e32 v89, 0x3f7e222b, v58
	v_fma_f32 v26, 0xbeb58ec6, v27, -v32
	v_add_f32_e32 v83, v29, v54
	v_sub_f32_e32 v54, v3, v49
	v_fmamk_f32 v30, v27, 0x3df6dbef, v28
	v_add_f32_e32 v67, v62, v38
	v_fma_f32 v29, 0x3df6dbef, v60, -v89
	v_add_f32_e32 v84, v26, v55
	v_add_f32_e32 v26, v48, v2
	v_mul_f32_e32 v38, 0xbeedf032, v54
	v_add_f32_e32 v86, v30, v61
	v_sub_f32_e32 v61, v2, v48
	v_sub_f32_e32 v57, v21, v7
	v_fma_f32 v31, 0x3f116cb1, v27, -v31
	v_add_f32_e32 v81, v33, v50
	v_add_f32_e32 v85, v29, v59
	v_fmamk_f32 v30, v26, 0x3f62ad3f, v38
	v_fma_f32 v90, 0x3df6dbef, v27, -v28
	v_add_f32_e32 v29, v49, v3
	v_mul_f32_e32 v50, 0xbeedf032, v61
	v_add_f32_e32 v27, v6, v20
	v_sub_f32_e32 v62, v20, v6
	v_mul_f32_e32 v39, 0xbf52af12, v57
	v_sub_f32_e32 v58, v23, v5
	v_add_f32_e32 v80, v31, v45
	v_add_f32_e32 v31, v30, v0
	v_fma_f32 v32, 0x3f62ad3f, v29, -v50
	v_add_f32_e32 v30, v7, v21
	v_mul_f32_e32 v53, 0xbf52af12, v62
	v_fmamk_f32 v33, v27, 0x3f116cb1, v39
	v_add_f32_e32 v28, v4, v22
	v_mul_f32_e32 v40, 0xbf7e222b, v58
	v_sub_f32_e32 v63, v22, v4
	v_add_f32_e32 v32, v32, v1
	v_fma_f32 v34, 0x3f116cb1, v30, -v53
	v_add_f32_e32 v33, v33, v31
	v_fmamk_f32 v35, v28, 0x3df6dbef, v40
	v_add_f32_e32 v31, v5, v23
	v_mul_f32_e32 v44, 0xbf7e222b, v63
	v_sub_f32_e32 v64, v16, v10
	v_add_f32_e32 v34, v34, v32
	v_sub_f32_e32 v59, v17, v11
	v_add_f32_e32 v36, v35, v33
	v_fma_f32 v35, 0x3df6dbef, v31, -v44
	v_add_f32_e32 v33, v11, v17
	v_mul_f32_e32 v45, 0xbf6f5d39, v64
	v_sub_f32_e32 v65, v18, v8
	v_fmac_f32_e32 v89, 0x3df6dbef, v60
	v_add_f32_e32 v32, v10, v16
	v_mul_f32_e32 v41, 0xbf6f5d39, v59
	v_add_f32_e32 v37, v35, v34
	v_sub_f32_e32 v60, v19, v9
	v_fma_f32 v55, 0xbeb58ec6, v33, -v45
	v_add_f32_e32 v35, v9, v19
	v_mul_f32_e32 v51, 0xbf29c268, v65
	v_fmamk_f32 v43, v32, 0xbeb58ec6, v41
	v_add_f32_e32 v34, v8, v18
	v_mul_f32_e32 v42, 0xbf29c268, v60
	v_add_f32_e32 v92, v55, v37
	v_sub_f32_e32 v56, v13, v15
	v_fma_f32 v94, 0xbf3f9e67, v35, -v51
	v_sub_f32_e32 v66, v12, v14
	v_mul_lo_u16 v95, v187, 13
	v_add_f32_e32 v91, v43, v36
	v_fmamk_f32 v93, v34, 0xbf3f9e67, v42
	v_add_f32_e32 v36, v14, v12
	v_add_f32_e32 v37, v15, v13
	v_mul_f32_e32 v43, 0xbe750f2a, v56
	v_mul_f32_e32 v55, 0xbe750f2a, v66
	v_add_f32_e32 v92, v94, v92
	v_and_b32_e32 v94, 0xffff, v95
	v_add_co_u32 v138, s0, v187, 39
	v_add_f32_e32 v91, v93, v91
	v_fmamk_f32 v93, v36, 0xbf788fa5, v43
	v_fma_f32 v95, 0xbf788fa5, v37, -v55
	v_lshl_add_u32 v223, v94, 3, v210
	v_add_co_ci_u32_e64 v52, null, 0, 0, s0
	v_add_f32_e32 v87, v89, v87
	v_add_f32_e32 v88, v90, v88
	;; [unrolled: 1-line block ×4, first 2 shown]
	s_barrier
	buffer_gl0_inv
	ds_write2_b64 v223, v[46:47], v[24:25] offset1:1
	ds_write2_b64 v223, v[69:70], v[73:74] offset0:2 offset1:3
	ds_write2_b64 v223, v[77:78], v[81:82] offset0:4 offset1:5
	v_mul_u32_u24_e32 v24, 13, v138
	buffer_store_dword v24, off, s[16:19], 0 offset:120 ; 4-byte Folded Spill
	ds_write2_b64 v223, v[85:86], v[87:88] offset0:6 offset1:7
	ds_write2_b64 v223, v[83:84], v[79:80] offset0:8 offset1:9
	;; [unrolled: 1-line block ×3, first 2 shown]
	ds_write_b64 v223, v[67:68] offset:96
	s_and_saveexec_b32 s0, vcc_lo
	s_cbranch_execz .LBB0_7
; %bb.6:
	v_mul_f32_e32 v69, 0xbe750f2a, v61
	v_mul_f32_e32 v73, 0x3eedf032, v62
	;; [unrolled: 1-line block ×5, first 2 shown]
	v_fmamk_f32 v24, v29, 0xbf788fa5, v69
	v_fmamk_f32 v25, v30, 0x3f62ad3f, v73
	;; [unrolled: 1-line block ×3, first 2 shown]
	v_mul_f32_e32 v84, 0xbf6f5d39, v65
	v_mul_f32_e32 v86, 0x3eedf032, v57
	v_add_f32_e32 v24, v24, v1
	v_mul_f32_e32 v88, 0xbf29c268, v58
	v_mul_f32_e32 v90, 0xbf29c268, v61
	;; [unrolled: 1-line block ×3, first 2 shown]
	v_fma_f32 v47, 0x3f62ad3f, v27, -v86
	v_add_f32_e32 v24, v25, v24
	v_fmamk_f32 v25, v33, 0x3f116cb1, v80
	v_add_f32_e32 v3, v3, v1
	v_add_f32_e32 v2, v2, v0
	v_mul_f32_e32 v71, 0x3f62ad3f, v29
	v_add_f32_e32 v24, v46, v24
	v_fma_f32 v46, 0xbf788fa5, v26, -v83
	v_mul_f32_e32 v89, 0x3f7e222b, v66
	v_fmamk_f32 v67, v29, 0xbf3f9e67, v90
	v_mul_f32_e32 v92, 0x3f7e222b, v62
	v_add_f32_e32 v24, v25, v24
	v_fmamk_f32 v25, v35, 0xbeb58ec6, v84
	v_add_f32_e32 v46, v46, v0
	v_mul_f32_e32 v93, 0xbf6f5d39, v60
	v_add_f32_e32 v3, v21, v3
	v_add_f32_e32 v2, v20, v2
	;; [unrolled: 1-line block ×4, first 2 shown]
	v_fma_f32 v46, 0xbf3f9e67, v28, -v88
	v_mul_f32_e32 v74, 0x3f116cb1, v30
	v_fmamk_f32 v47, v37, 0x3df6dbef, v89
	v_add_f32_e32 v67, v67, v1
	v_fmamk_f32 v68, v30, 0x3df6dbef, v92
	v_add_f32_e32 v25, v46, v25
	v_fma_f32 v46, 0x3f116cb1, v32, -v91
	v_mul_f32_e32 v94, 0xbf52af12, v63
	v_fma_f32 v95, 0xbeb58ec6, v34, -v93
	v_add_f32_e32 v50, v50, v71
	v_add_f32_e32 v3, v23, v3
	;; [unrolled: 1-line block ×4, first 2 shown]
	v_mul_f32_e32 v77, 0x3df6dbef, v31
	v_add_f32_e32 v25, v47, v24
	v_add_f32_e32 v24, v68, v67
	v_fmamk_f32 v47, v31, 0x3f116cb1, v94
	v_mul_f32_e32 v96, 0x3e750f2a, v64
	v_add_f32_e32 v46, v95, v46
	v_mul_f32_e32 v95, 0x3f7e222b, v56
	v_mul_f32_e32 v97, 0xbf29c268, v54
	v_add_f32_e32 v50, v50, v1
	v_add_f32_e32 v53, v53, v74
	;; [unrolled: 1-line block ×4, first 2 shown]
	v_mul_f32_e32 v70, 0x3f62ad3f, v26
	v_mul_f32_e32 v79, 0xbeb58ec6, v33
	v_add_f32_e32 v24, v47, v24
	v_fmamk_f32 v47, v33, 0xbf788fa5, v96
	v_mul_f32_e32 v98, 0x3eedf032, v65
	v_fma_f32 v67, 0x3df6dbef, v36, -v95
	v_fma_f32 v68, 0xbf3f9e67, v26, -v97
	v_mul_f32_e32 v99, 0x3f7e222b, v57
	v_add_f32_e32 v50, v53, v50
	v_add_f32_e32 v44, v44, v77
	;; [unrolled: 1-line block ×4, first 2 shown]
	v_mul_f32_e32 v72, 0x3f116cb1, v27
	v_add_f32_e32 v47, v47, v24
	v_fmamk_f32 v100, v35, 0x3f62ad3f, v98
	v_add_f32_e32 v24, v67, v46
	v_add_f32_e32 v46, v68, v0
	v_fma_f32 v67, 0x3df6dbef, v27, -v99
	v_mul_f32_e32 v101, 0xbf52af12, v58
	v_mul_f32_e32 v102, 0xbf6f5d39, v61
	v_add_f32_e32 v44, v44, v50
	v_add_f32_e32 v22, v45, v79
	v_sub_f32_e32 v38, v70, v38
	v_add_f32_e32 v3, v13, v3
	v_add_f32_e32 v2, v12, v2
	v_mul_f32_e32 v75, 0x3df6dbef, v28
	v_add_f32_e32 v47, v100, v47
	v_mul_f32_e32 v100, 0xbf6f5d39, v66
	v_add_f32_e32 v46, v67, v46
	v_fma_f32 v67, 0x3f116cb1, v28, -v101
	v_mul_f32_e32 v103, 0x3e750f2a, v59
	v_fmamk_f32 v104, v29, 0xbeb58ec6, v102
	v_mul_f32_e32 v105, 0x3f29c268, v62
	v_add_f32_e32 v16, v22, v44
	v_add_f32_e32 v22, v38, v0
	v_sub_f32_e32 v18, v72, v39
	v_add_f32_e32 v3, v15, v3
	v_add_f32_e32 v2, v14, v2
	v_fma_f32 v14, 0xbf788fa5, v29, -v69
	v_mul_f32_e32 v78, 0xbeb58ec6, v32
	v_fmamk_f32 v68, v37, 0xbeb58ec6, v100
	v_add_f32_e32 v46, v67, v46
	v_fma_f32 v67, 0xbf788fa5, v32, -v103
	v_mul_f32_e32 v106, 0x3eedf032, v60
	v_add_f32_e32 v104, v104, v1
	v_fmamk_f32 v107, v30, 0xbf3f9e67, v105
	v_mul_f32_e32 v108, 0x3eedf032, v63
	v_add_f32_e32 v12, v18, v22
	v_sub_f32_e32 v13, v75, v40
	v_add_f32_e32 v3, v9, v3
	v_add_f32_e32 v2, v8, v2
	;; [unrolled: 1-line block ×3, first 2 shown]
	v_fma_f32 v9, 0x3f62ad3f, v30, -v73
	v_mul_f32_e32 v81, 0xbf3f9e67, v34
	v_add_f32_e32 v46, v67, v46
	v_fma_f32 v67, 0x3f62ad3f, v34, -v106
	v_add_f32_e32 v47, v68, v47
	v_add_f32_e32 v68, v107, v104
	v_fmamk_f32 v104, v31, 0x3f62ad3f, v108
	v_mul_f32_e32 v107, 0xbf7e222b, v64
	v_mul_f32_e32 v109, 0xbf6f5d39, v56
	;; [unrolled: 1-line block ×3, first 2 shown]
	v_add_f32_e32 v12, v13, v12
	v_sub_f32_e32 v13, v78, v41
	v_add_f32_e32 v3, v11, v3
	v_add_f32_e32 v2, v10, v2
	;; [unrolled: 1-line block ×3, first 2 shown]
	v_fma_f32 v9, 0xbf3f9e67, v31, -v76
	v_mul_f32_e32 v85, 0xbf788fa5, v36
	v_add_f32_e32 v46, v67, v46
	v_add_f32_e32 v67, v104, v68
	v_fmamk_f32 v68, v33, 0x3df6dbef, v107
	v_mul_f32_e32 v104, 0x3e750f2a, v65
	v_fma_f32 v111, 0xbeb58ec6, v36, -v109
	v_fma_f32 v112, 0xbeb58ec6, v26, -v110
	v_mul_f32_e32 v113, 0x3f29c268, v57
	v_add_f32_e32 v12, v13, v12
	v_sub_f32_e32 v13, v81, v42
	v_add_f32_e32 v5, v5, v3
	v_add_f32_e32 v4, v4, v2
	;; [unrolled: 1-line block ×3, first 2 shown]
	v_fma_f32 v9, 0x3f116cb1, v33, -v80
	v_add_f32_e32 v67, v68, v67
	v_fmamk_f32 v68, v35, 0xbf788fa5, v104
	v_add_f32_e32 v46, v111, v46
	v_add_f32_e32 v111, v112, v0
	v_fma_f32 v112, 0xbf3f9e67, v27, -v113
	v_mul_f32_e32 v114, 0x3eedf032, v58
	v_mul_f32_e32 v116, 0xbf7e222b, v61
	v_add_f32_e32 v10, v13, v12
	v_sub_f32_e32 v11, v85, v43
	v_add_f32_e32 v5, v7, v5
	v_add_f32_e32 v4, v6, v4
	;; [unrolled: 1-line block ×3, first 2 shown]
	v_fma_f32 v7, 0xbeb58ec6, v35, -v84
	v_fmac_f32_e32 v83, 0xbf788fa5, v26
	v_fma_f32 v8, 0xbf3f9e67, v29, -v90
	v_add_f32_e32 v67, v68, v67
	v_mul_f32_e32 v115, 0x3f52af12, v66
	v_add_f32_e32 v68, v112, v111
	v_fma_f32 v111, 0x3f62ad3f, v28, -v114
	v_mul_f32_e32 v112, 0xbf7e222b, v59
	v_fmamk_f32 v118, v29, 0x3df6dbef, v116
	v_mul_f32_e32 v119, 0xbe750f2a, v62
	v_add_f32_e32 v2, v11, v10
	v_add_f32_e32 v6, v7, v6
	v_fma_f32 v7, 0x3df6dbef, v37, -v89
	v_add_f32_e32 v9, v83, v0
	v_fmac_f32_e32 v86, 0x3f62ad3f, v27
	v_add_f32_e32 v8, v8, v1
	v_fma_f32 v10, 0x3df6dbef, v30, -v92
	v_fmac_f32_e32 v97, 0xbf3f9e67, v26
	v_fmamk_f32 v117, v37, 0x3f116cb1, v115
	v_add_f32_e32 v68, v111, v68
	v_fma_f32 v111, 0x3df6dbef, v32, -v112
	v_mul_f32_e32 v120, 0x3e750f2a, v60
	v_add_f32_e32 v118, v118, v1
	v_fmamk_f32 v121, v30, 0xbf788fa5, v119
	v_mul_f32_e32 v122, 0x3f6f5d39, v63
	v_add_f32_e32 v7, v7, v6
	v_add_f32_e32 v6, v86, v9
	;; [unrolled: 1-line block ×3, first 2 shown]
	v_fma_f32 v9, 0x3f116cb1, v31, -v94
	v_add_f32_e32 v10, v97, v0
	v_fmac_f32_e32 v99, 0x3df6dbef, v27
	v_add_f32_e32 v111, v111, v68
	v_fma_f32 v123, 0xbf788fa5, v34, -v120
	v_add_f32_e32 v68, v117, v67
	v_add_f32_e32 v67, v121, v118
	v_fmamk_f32 v117, v31, 0xbeb58ec6, v122
	v_mul_f32_e32 v118, 0x3eedf032, v64
	v_add_f32_e32 v8, v9, v8
	v_fma_f32 v9, 0xbf788fa5, v33, -v96
	v_add_f32_e32 v10, v99, v10
	v_fmac_f32_e32 v101, 0x3f116cb1, v28
	v_add_f32_e32 v111, v123, v111
	v_mul_f32_e32 v121, 0xbf7e222b, v54
	v_mul_f32_e32 v123, 0x3f52af12, v56
	v_add_f32_e32 v67, v117, v67
	v_fmamk_f32 v117, v33, 0x3f62ad3f, v118
	v_mul_f32_e32 v126, 0xbf52af12, v65
	v_add_f32_e32 v8, v9, v8
	v_fma_f32 v9, 0x3f62ad3f, v35, -v98
	v_add_f32_e32 v10, v101, v10
	v_fmac_f32_e32 v103, 0xbf788fa5, v32
	v_fma_f32 v127, 0x3df6dbef, v26, -v121
	v_mul_f32_e32 v128, 0xbe750f2a, v57
	v_fma_f32 v129, 0x3f116cb1, v36, -v123
	v_add_f32_e32 v117, v117, v67
	v_fmamk_f32 v130, v35, 0x3f116cb1, v126
	v_add_f32_e32 v8, v9, v8
	v_fma_f32 v9, 0xbeb58ec6, v37, -v100
	v_add_f32_e32 v10, v103, v10
	v_fmac_f32_e32 v106, 0x3f62ad3f, v34
	v_fma_f32 v11, 0xbeb58ec6, v29, -v102
	v_fmac_f32_e32 v110, 0xbeb58ec6, v26
	v_add_f32_e32 v127, v127, v0
	v_fma_f32 v131, 0xbf788fa5, v27, -v128
	v_mul_f32_e32 v132, 0x3f6f5d39, v58
	v_add_f32_e32 v67, v129, v111
	v_add_f32_e32 v111, v130, v117
	v_mul_f32_e32 v117, 0xbf52af12, v61
	v_add_f32_e32 v9, v9, v8
	v_add_f32_e32 v8, v106, v10
	v_add_f32_e32 v10, v11, v1
	v_fma_f32 v11, 0xbf3f9e67, v30, -v105
	v_add_f32_e32 v12, v110, v0
	v_fmac_f32_e32 v113, 0xbf3f9e67, v27
	v_fma_f32 v13, 0x3df6dbef, v29, -v116
	v_add_f32_e32 v61, v131, v127
	v_fma_f32 v127, 0xbeb58ec6, v28, -v132
	v_mul_f32_e32 v129, 0x3eedf032, v59
	v_mul_f32_e32 v130, 0xbf29c268, v66
	v_fmamk_f32 v131, v29, 0x3f116cb1, v117
	v_mul_f32_e32 v133, 0xbf6f5d39, v62
	v_add_f32_e32 v10, v11, v10
	v_fma_f32 v11, 0x3f62ad3f, v31, -v108
	v_add_f32_e32 v12, v113, v12
	v_fmac_f32_e32 v114, 0x3f62ad3f, v28
	v_add_f32_e32 v13, v13, v1
	v_fma_f32 v14, 0xbf788fa5, v30, -v119
	v_add_f32_e32 v61, v127, v61
	v_fma_f32 v62, 0x3f62ad3f, v32, -v129
	v_mul_f32_e32 v127, 0xbf52af12, v60
	v_add_f32_e32 v131, v131, v1
	v_fmamk_f32 v134, v30, 0xbeb58ec6, v133
	v_mul_f32_e32 v63, 0xbe750f2a, v63
	v_fmamk_f32 v135, v37, 0xbf3f9e67, v130
	v_add_f32_e32 v10, v11, v10
	v_fma_f32 v11, 0x3df6dbef, v33, -v107
	v_add_f32_e32 v12, v114, v12
	v_fmac_f32_e32 v112, 0x3df6dbef, v32
	v_add_f32_e32 v13, v14, v13
	v_fma_f32 v14, 0xbeb58ec6, v31, -v122
	v_add_f32_e32 v61, v62, v61
	v_fma_f32 v139, 0x3f116cb1, v34, -v127
	v_add_f32_e32 v131, v134, v131
	v_fmamk_f32 v134, v31, 0xbf788fa5, v63
	v_add_f32_e32 v62, v135, v111
	v_mul_f32_e32 v111, 0xbf52af12, v54
	v_add_f32_e32 v10, v11, v10
	v_fma_f32 v11, 0xbf788fa5, v35, -v104
	v_add_f32_e32 v12, v112, v12
	v_fmac_f32_e32 v120, 0xbf788fa5, v34
	v_add_f32_e32 v13, v14, v13
	v_fma_f32 v14, 0x3f62ad3f, v33, -v118
	v_add_f32_e32 v54, v139, v61
	v_add_f32_e32 v61, v134, v131
	v_fma_f32 v134, 0x3f116cb1, v26, -v111
	v_mul_f32_e32 v57, 0xbf6f5d39, v57
	v_add_f32_e32 v10, v11, v10
	v_fma_f32 v11, 0x3f116cb1, v37, -v115
	v_add_f32_e32 v12, v120, v12
	v_fmac_f32_e32 v123, 0x3f116cb1, v36
	v_add_f32_e32 v13, v14, v13
	v_fma_f32 v14, 0x3f116cb1, v35, -v126
	v_fmac_f32_e32 v121, 0x3df6dbef, v26
	v_fmac_f32_e32 v111, 0x3f116cb1, v26
	v_add_f32_e32 v134, v134, v0
	v_fma_f32 v139, 0xbeb58ec6, v27, -v57
	v_mul_f32_e32 v58, 0xbe750f2a, v58
	v_add_f32_e32 v11, v11, v10
	v_add_f32_e32 v10, v123, v12
	;; [unrolled: 1-line block ×3, first 2 shown]
	v_fma_f32 v13, 0x3f116cb1, v29, -v117
	v_add_f32_e32 v15, v121, v0
	v_add_f32_e32 v0, v111, v0
	v_fmac_f32_e32 v57, 0xbeb58ec6, v27
	v_mul_f32_e32 v82, 0xbf3f9e67, v35
	v_add_f32_e32 v134, v139, v134
	v_fma_f32 v139, 0xbf788fa5, v28, -v58
	v_mul_f32_e32 v59, 0x3f29c268, v59
	v_fmac_f32_e32 v128, 0xbf788fa5, v27
	v_add_f32_e32 v1, v13, v1
	v_fma_f32 v13, 0xbeb58ec6, v30, -v133
	v_add_f32_e32 v0, v57, v0
	v_fmac_f32_e32 v58, 0xbf788fa5, v28
	v_mul_f32_e32 v64, 0x3f29c268, v64
	v_fmac_f32_e32 v88, 0xbf3f9e67, v28
	v_mul_f32_e32 v87, 0xbf788fa5, v37
	v_add_f32_e32 v71, v139, v134
	v_fma_f32 v134, 0xbf3f9e67, v32, -v59
	v_mul_f32_e32 v60, 0x3f7e222b, v60
	v_add_f32_e32 v17, v51, v82
	v_add_f32_e32 v15, v128, v15
	v_fmac_f32_e32 v132, 0xbeb58ec6, v28
	v_add_f32_e32 v1, v13, v1
	v_fma_f32 v13, 0xbf788fa5, v31, -v63
	v_add_f32_e32 v0, v58, v0
	v_fmac_f32_e32 v59, 0xbf3f9e67, v32
	v_fmamk_f32 v131, v33, 0xbf3f9e67, v64
	v_mul_f32_e32 v65, 0x3f7e222b, v65
	v_add_f32_e32 v6, v88, v6
	v_fmac_f32_e32 v91, 0x3f116cb1, v32
	v_fma_f32 v74, 0x3df6dbef, v34, -v60
	v_add_f32_e32 v16, v17, v16
	v_add_f32_e32 v17, v55, v87
	;; [unrolled: 1-line block ×3, first 2 shown]
	v_fmac_f32_e32 v129, 0x3f62ad3f, v32
	v_add_f32_e32 v1, v13, v1
	v_fma_f32 v13, 0xbf3f9e67, v33, -v64
	v_add_f32_e32 v0, v59, v0
	v_fmac_f32_e32 v60, 0x3df6dbef, v34
	v_mul_f32_e32 v135, 0xbf29c268, v56
	v_add_f32_e32 v61, v131, v61
	v_fmamk_f32 v131, v35, 0x3df6dbef, v65
	v_mul_f32_e32 v66, 0x3eedf032, v66
	v_add_f32_e32 v71, v134, v71
	v_mul_f32_e32 v21, 0x3eedf032, v56
	v_add_f32_e32 v6, v91, v6
	v_fmac_f32_e32 v93, 0xbeb58ec6, v34
	v_add_f32_e32 v3, v17, v16
	v_add_f32_e32 v15, v129, v15
	v_fmac_f32_e32 v127, 0x3f116cb1, v34
	v_add_f32_e32 v1, v13, v1
	v_fma_f32 v13, 0x3df6dbef, v35, -v65
	v_add_f32_e32 v17, v60, v0
	v_mul_u32_u24_e32 v0, 13, v138
	v_fma_f32 v140, 0xbf3f9e67, v36, -v135
	v_add_f32_e32 v131, v131, v61
	v_fmamk_f32 v141, v37, 0x3f62ad3f, v66
	v_add_f32_e32 v20, v74, v71
	v_fma_f32 v23, 0x3f62ad3f, v36, -v21
	v_add_f32_e32 v6, v93, v6
	v_fmac_f32_e32 v95, 0x3df6dbef, v36
	v_fmac_f32_e32 v109, 0xbeb58ec6, v36
	v_add_f32_e32 v5, v49, v5
	v_add_f32_e32 v4, v48, v4
	v_fma_f32 v14, 0xbf3f9e67, v37, -v130
	v_add_f32_e32 v15, v127, v15
	v_fmac_f32_e32 v135, 0xbf3f9e67, v36
	v_add_f32_e32 v13, v13, v1
	v_fma_f32 v16, 0x3f62ad3f, v37, -v66
	v_fmac_f32_e32 v21, 0x3f62ad3f, v36
	v_lshl_add_u32 v18, v0, 3, v210
	v_add_f32_e32 v61, v140, v54
	v_add_f32_e32 v54, v141, v131
	v_add_f32_e32 v53, v23, v20
	v_add_f32_e32 v6, v95, v6
	v_add_f32_e32 v8, v109, v8
	v_add_f32_e32 v1, v14, v12
	v_add_f32_e32 v0, v135, v15
	v_add_f32_e32 v13, v16, v13
	v_add_f32_e32 v12, v21, v17
	ds_write2_b64 v18, v[4:5], v[2:3] offset1:1
	ds_write2_b64 v18, v[53:54], v[61:62] offset0:2 offset1:3
	ds_write2_b64 v18, v[67:68], v[46:47] offset0:4 offset1:5
	;; [unrolled: 1-line block ×5, first 2 shown]
	ds_write_b64 v18, v[124:125] offset:96
.LBB0_7:
	s_or_b32 exec_lo, exec_lo, s0
	v_and_b32_e32 v0, 0xff, v187
	v_and_b32_e32 v1, 0xff, v138
	v_add_co_u32 v130, s0, 0x4e, v187
	v_add_co_ci_u32_e64 v131, null, 0, 0, s0
	v_mul_lo_u16 v0, 0x4f, v0
	v_add_co_u32 v128, s0, 0x75, v187
	v_add_co_ci_u32_e64 v129, null, 0, 0, s0
	v_lshrrev_b16 v60, 10, v0
	v_mul_lo_u16 v0, 0x4f, v1
	v_and_b32_e32 v53, 0xff, v128
	v_add_co_u32 v126, s0, 0x9c, v187
	v_mul_lo_u16 v1, v60, 13
	v_lshrrev_b16 v57, 10, v0
	v_mov_b32_e32 v0, 5
	v_and_b32_e32 v54, 0xff, v126
	s_waitcnt lgkmcnt(0)
	s_waitcnt_vscnt null, 0x0
	v_sub_nc_u16 v61, v187, v1
	v_mul_lo_u16 v1, v57, 13
	s_barrier
	buffer_gl0_inv
	v_add_nc_u32_e32 v59, 0x800, v209
	v_lshlrev_b32_sdwa v2, v0, v61 dst_sel:DWORD dst_unused:UNUSED_PAD src0_sel:DWORD src1_sel:BYTE_0
	v_sub_nc_u16 v58, v138, v1
	v_and_b32_e32 v1, 0xff, v130
	v_add_nc_u32_e32 v56, 0x1000, v209
	s_clause 0x1
	global_load_dwordx4 v[32:35], v2, s[4:5]
	global_load_dwordx4 v[20:23], v2, s[4:5] offset:16
	v_lshlrev_b32_sdwa v2, v0, v58 dst_sel:DWORD dst_unused:UNUSED_PAD src0_sel:DWORD src1_sel:BYTE_0
	v_mul_lo_u16 v1, 0x4f, v1
	v_add_nc_u32_e32 v55, 0x1800, v209
	v_add_nc_u32_e32 v139, 0x400, v209
	v_add_co_ci_u32_e64 v127, null, 0, 0, s0
	v_lshrrev_b16 v63, 10, v1
	v_mul_lo_u16 v1, 0x4f, v53
	s_clause 0x1
	global_load_dwordx4 v[8:11], v2, s[4:5]
	global_load_dwordx4 v[28:31], v2, s[4:5] offset:16
	v_cmp_gt_u16_e64 s0, 13, v187
	v_mul_lo_u16 v2, v63, 13
	v_lshrrev_b16 v67, 10, v1
	v_mul_lo_u16 v1, 0x4f, v54
	v_sub_nc_u16 v66, v130, v2
	v_mul_lo_u16 v2, v67, 13
	v_lshrrev_b16 v64, 10, v1
	v_lshlrev_b32_sdwa v3, v0, v66 dst_sel:DWORD dst_unused:UNUSED_PAD src0_sel:DWORD src1_sel:BYTE_0
	v_sub_nc_u16 v62, v128, v2
	v_mul_lo_u16 v1, v64, 13
	global_load_dwordx4 v[40:43], v3, s[4:5]
	v_lshlrev_b32_sdwa v2, v0, v62 dst_sel:DWORD dst_unused:UNUSED_PAD src0_sel:DWORD src1_sel:BYTE_0
	v_sub_nc_u16 v65, v126, v1
	s_clause 0x1
	global_load_dwordx4 v[36:39], v3, s[4:5] offset:16
	global_load_dwordx4 v[24:27], v2, s[4:5]
	v_lshlrev_b32_sdwa v0, v0, v65 dst_sel:DWORD dst_unused:UNUSED_PAD src0_sel:DWORD src1_sel:BYTE_0
	s_clause 0x2
	global_load_dwordx4 v[16:19], v2, s[4:5] offset:16
	global_load_dwordx4 v[12:15], v0, s[4:5]
	global_load_dwordx4 v[4:7], v0, s[4:5] offset:16
	ds_read2_b64 v[0:3], v209 offset0:156 offset1:195
	ds_read2_b64 v[68:71], v59 offset0:134 offset1:173
	;; [unrolled: 1-line block ×6, first 2 shown]
	ds_read2_b64 v[48:51], v209 offset1:39
	ds_read2_b64 v[44:47], v209 offset0:78 offset1:117
	ds_read_b64 v[105:106], v209 offset:7488
	ds_read2_b64 v[89:92], v59 offset0:212 offset1:251
	ds_read2_b64 v[93:96], v55 offset0:90 offset1:129
	;; [unrolled: 1-line block ×4, first 2 shown]
	s_waitcnt vmcnt(0) lgkmcnt(0)
	s_barrier
	buffer_gl0_inv
	v_mul_f32_e32 v72, v3, v33
	v_mul_f32_e32 v107, v2, v33
	;; [unrolled: 1-line block ×8, first 2 shown]
	v_fma_f32 v122, v2, v32, -v72
	v_fmac_f32_e32 v107, v3, v32
	v_mul_f32_e32 v114, v82, v9
	v_mul_f32_e32 v115, v81, v9
	;; [unrolled: 1-line block ×8, first 2 shown]
	v_fma_f32 v108, v68, v34, -v108
	v_fmac_f32_e32 v109, v69, v34
	v_fma_f32 v110, v75, v20, -v110
	v_fmac_f32_e32 v111, v76, v20
	;; [unrolled: 2-line block ×5, first 2 shown]
	v_fma_f32 v82, v85, v28, -v118
	v_fma_f32 v114, v79, v30, -v120
	v_fmac_f32_e32 v121, v80, v30
	v_mul_f32_e32 v70, v84, v41
	v_mul_f32_e32 v78, v83, v41
	;; [unrolled: 1-line block ×20, first 2 shown]
	v_fmac_f32_e32 v119, v86, v28
	v_mul_f32_e32 v123, v91, v27
	v_mul_f32_e32 v86, v96, v19
	;; [unrolled: 1-line block ×4, first 2 shown]
	v_fma_f32 v83, v83, v40, -v70
	v_fmac_f32_e32 v78, v84, v40
	v_fma_f32 v89, v89, v42, -v71
	v_fmac_f32_e32 v116, v90, v42
	;; [unrolled: 2-line block ×5, first 2 shown]
	v_fma_f32 v88, v91, v26, -v81
	v_fma_f32 v98, v101, v16, -v85
	v_fmac_f32_e32 v133, v102, v16
	v_fmac_f32_e32 v134, v96, v18
	v_fma_f32 v72, v99, v12, -v132
	v_fmac_f32_e32 v3, v100, v12
	v_fma_f32 v70, v73, v14, -v135
	;; [unrolled: 2-line block ×3, first 2 shown]
	v_fmac_f32_e32 v68, v106, v6
	v_add_f32_e32 v74, v48, v122
	v_sub_f32_e32 v91, v107, v113
	v_sub_f32_e32 v81, v122, v108
	v_sub_f32_e32 v84, v112, v110
	v_add_f32_e32 v90, v49, v107
	v_add_f32_e32 v93, v109, v111
	v_sub_f32_e32 v96, v107, v109
	v_sub_f32_e32 v97, v113, v111
	v_add_f32_e32 v99, v107, v113
	v_sub_f32_e32 v100, v109, v107
	v_sub_f32_e32 v101, v111, v113
	v_add_f32_e32 v102, v50, v75
	v_add_f32_e32 v103, v76, v82
	v_sub_f32_e32 v106, v75, v76
	v_sub_f32_e32 v107, v114, v82
	;; [unrolled: 1-line block ×4, first 2 shown]
	v_fmac_f32_e32 v123, v92, v26
	v_fma_f32 v144, v95, v18, -v86
	v_fmac_f32_e32 v2, v104, v4
	v_fma_f32 v73, v105, v6, -v141
	v_add_f32_e32 v77, v108, v110
	v_sub_f32_e32 v92, v109, v111
	v_add_f32_e32 v85, v122, v112
	v_sub_f32_e32 v86, v108, v122
	v_sub_f32_e32 v87, v110, v112
	;; [unrolled: 1-line block ×5, first 2 shown]
	v_add_f32_e32 v122, v75, v114
	v_add_f32_e32 v140, v51, v115
	;; [unrolled: 1-line block ×3, first 2 shown]
	v_sub_f32_e32 v145, v75, v114
	v_sub_f32_e32 v146, v76, v82
	;; [unrolled: 1-line block ×4, first 2 shown]
	v_add_f32_e32 v149, v115, v121
	v_sub_f32_e32 v115, v117, v115
	v_sub_f32_e32 v150, v119, v121
	v_add_f32_e32 v108, v74, v108
	v_add_f32_e32 v151, v81, v84
	;; [unrolled: 1-line block ×3, first 2 shown]
	v_fma_f32 v75, -0.5, v93, v49
	v_add_f32_e32 v109, v96, v97
	v_fma_f32 v49, -0.5, v99, v49
	v_add_f32_e32 v153, v100, v101
	v_add_f32_e32 v84, v102, v76
	v_fma_f32 v76, -0.5, v103, v50
	v_add_f32_e32 v103, v106, v107
	v_add_f32_e32 v106, v132, v135
	v_sub_f32_e32 v97, v89, v83
	v_sub_f32_e32 v99, v142, v143
	v_add_f32_e32 v100, v45, v78
	v_sub_f32_e32 v102, v78, v116
	v_sub_f32_e32 v132, v120, v118
	v_add_f32_e32 v208, v70, v71
	v_sub_f32_e32 v105, v117, v119
	v_fma_f32 v74, -0.5, v77, v48
	v_fma_f32 v48, -0.5, v85, v48
	v_add_f32_e32 v152, v86, v87
	v_fma_f32 v50, -0.5, v122, v50
	v_fma_f32 v77, -0.5, v141, v51
	v_add_f32_e32 v107, v147, v148
	v_fmac_f32_e32 v51, -0.5, v149
	v_add_f32_e32 v115, v115, v150
	v_add_f32_e32 v86, v44, v83
	;; [unrolled: 1-line block ×3, first 2 shown]
	v_sub_f32_e32 v122, v116, v118
	v_add_f32_e32 v101, v116, v118
	v_sub_f32_e32 v147, v116, v78
	v_add_f32_e32 v149, v46, v79
	v_add_f32_e32 v150, v88, v98
	v_sub_f32_e32 v156, v79, v88
	v_add_f32_e32 v158, v79, v144
	v_sub_f32_e32 v159, v88, v79
	;; [unrolled: 2-line block ×4, first 2 shown]
	v_add_f32_e32 v108, v108, v110
	v_add_f32_e32 v110, v81, v111
	v_fmamk_f32 v79, v94, 0xbf737871, v75
	v_fmac_f32_e32 v75, 0x3f737871, v94
	v_add_f32_e32 v111, v84, v82
	v_fmamk_f32 v82, v104, 0x3f737871, v76
	v_fmac_f32_e32 v76, 0xbf737871, v104
	v_add_f32_e32 v218, v97, v99
	v_add_f32_e32 v97, v100, v116
	;; [unrolled: 1-line block ×3, first 2 shown]
	v_fma_f32 v132, -0.5, v208, v0
	v_sub_f32_e32 v90, v83, v89
	v_sub_f32_e32 v93, v143, v142
	v_add_f32_e32 v96, v83, v143
	v_sub_f32_e32 v135, v83, v143
	v_sub_f32_e32 v154, v80, v134
	;; [unrolled: 1-line block ×4, first 2 shown]
	v_add_f32_e32 v167, v80, v134
	v_sub_f32_e32 v205, v123, v80
	v_sub_f32_e32 v212, v69, v2
	;; [unrolled: 1-line block ×4, first 2 shown]
	v_add_f32_e32 v215, v72, v73
	v_fmamk_f32 v80, v92, 0xbf737871, v48
	v_fmac_f32_e32 v48, 0x3f737871, v92
	v_fmamk_f32 v84, v105, 0xbf737871, v50
	v_fmac_f32_e32 v50, 0x3f737871, v105
	;; [unrolled: 2-line block ×3, first 2 shown]
	v_add_f32_e32 v216, v86, v89
	v_fma_f32 v86, -0.5, v87, v44
	v_fma_f32 v87, -0.5, v101, v45
	v_add_f32_e32 v99, v149, v88
	v_fma_f32 v88, -0.5, v150, v46
	v_add_f32_e32 v101, v161, v123
	v_add_f32_e32 v150, v207, v70
	v_fmac_f32_e32 v79, 0xbf167918, v95
	v_fmac_f32_e32 v75, 0x3f167918, v95
	;; [unrolled: 1-line block ×4, first 2 shown]
	v_fmamk_f32 v102, v211, 0x3f737871, v132
	v_fmac_f32_e32 v132, 0xbf737871, v211
	v_add_f32_e32 v85, v140, v117
	v_sub_f32_e32 v117, v78, v120
	v_add_f32_e32 v141, v78, v120
	v_fmamk_f32 v78, v91, 0x3f737871, v74
	v_fmac_f32_e32 v74, 0xbf737871, v91
	v_add_f32_e32 v217, v90, v93
	v_add_f32_e32 v90, v108, v112
	v_fmac_f32_e32 v80, 0x3f167918, v91
	v_fmac_f32_e32 v48, 0xbf167918, v91
	v_add_f32_e32 v91, v110, v113
	v_fmac_f32_e32 v84, 0x3f167918, v104
	v_fmac_f32_e32 v50, 0xbf167918, v104
	;; [unrolled: 1-line block ×4, first 2 shown]
	v_add_f32_e32 v108, v99, v98
	v_add_f32_e32 v110, v101, v133
	v_fmac_f32_e32 v79, 0x3e9e377a, v109
	v_fmac_f32_e32 v75, 0x3e9e377a, v109
	;; [unrolled: 1-line block ×4, first 2 shown]
	v_add_f32_e32 v103, v150, v71
	v_fmac_f32_e32 v102, 0x3f167918, v212
	v_add_f32_e32 v109, v213, v214
	v_fma_f32 v0, -0.5, v215, v0
	v_fmac_f32_e32 v132, 0xbf167918, v212
	v_fmac_f32_e32 v78, 0x3f167918, v92
	;; [unrolled: 1-line block ×3, first 2 shown]
	v_add_f32_e32 v92, v111, v114
	v_fmac_f32_e32 v84, 0x3e9e377a, v106
	v_fmac_f32_e32 v50, 0x3e9e377a, v106
	;; [unrolled: 1-line block ×4, first 2 shown]
	v_add_f32_e32 v106, v108, v144
	v_add_f32_e32 v107, v110, v134
	;; [unrolled: 1-line block ×3, first 2 shown]
	v_fmac_f32_e32 v102, 0x3e9e377a, v109
	v_fmamk_f32 v110, v212, 0xbf737871, v0
	v_sub_f32_e32 v103, v70, v72
	v_sub_f32_e32 v111, v71, v73
	v_add_f32_e32 v112, v1, v3
	v_add_f32_e32 v113, v69, v2
	v_fmac_f32_e32 v0, 0x3f737871, v212
	v_fmac_f32_e32 v132, 0x3e9e377a, v109
	v_add_f32_e32 v109, v3, v68
	v_sub_f32_e32 v155, v123, v133
	v_add_f32_e32 v162, v123, v133
	v_sub_f32_e32 v166, v134, v133
	v_sub_f32_e32 v206, v133, v134
	v_fmac_f32_e32 v110, 0x3f167918, v211
	v_add_f32_e32 v111, v103, v111
	v_add_f32_e32 v103, v112, v69
	v_fma_f32 v133, -0.5, v113, v1
	v_fmac_f32_e32 v0, 0xbf167918, v211
	v_sub_f32_e32 v70, v70, v71
	v_sub_f32_e32 v71, v3, v69
	v_fmac_f32_e32 v1, -0.5, v109
	v_sub_f32_e32 v3, v69, v3
	v_mov_b32_e32 v69, 0x41
	v_sub_f32_e32 v72, v72, v73
	v_fmac_f32_e32 v110, 0x3e9e377a, v111
	v_add_f32_e32 v73, v103, v2
	v_sub_f32_e32 v112, v68, v2
	v_fmac_f32_e32 v0, 0x3e9e377a, v111
	v_fmamk_f32 v111, v70, 0x3f737871, v1
	v_sub_f32_e32 v2, v2, v68
	v_fmac_f32_e32 v1, 0xbf737871, v70
	v_mul_u32_u24_sdwa v60, v60, v69 dst_sel:DWORD dst_unused:UNUSED_PAD src0_sel:WORD_0 src1_sel:DWORD
	v_fmamk_f32 v81, v95, 0x3f737871, v49
	v_fmac_f32_e32 v49, 0xbf737871, v95
	v_fmac_f32_e32 v111, 0xbf167918, v72
	v_add_f32_e32 v2, v3, v2
	v_fmac_f32_e32 v1, 0x3f167918, v72
	v_add_nc_u32_sdwa v3, v60, v61 dst_sel:DWORD dst_unused:UNUSED_PAD src0_sel:DWORD src1_sel:BYTE_0
	v_mul_u32_u24_sdwa v57, v57, v69 dst_sel:DWORD dst_unused:UNUSED_PAD src0_sel:WORD_0 src1_sel:DWORD
	v_fmac_f32_e32 v81, 0xbf167918, v94
	v_fmac_f32_e32 v49, 0x3f167918, v94
	v_sub_f32_e32 v140, v89, v142
	v_fma_f32 v89, -0.5, v162, v47
	v_fmac_f32_e32 v78, 0x3e9e377a, v151
	v_fmac_f32_e32 v111, 0x3e9e377a, v2
	;; [unrolled: 1-line block ×3, first 2 shown]
	v_lshl_add_u32 v60, v3, 3, v210
	v_add_nc_u32_sdwa v2, v57, v58 dst_sel:DWORD dst_unused:UNUSED_PAD src0_sel:DWORD src1_sel:BYTE_0
	v_fma_f32 v44, -0.5, v96, v44
	v_fma_f32 v45, -0.5, v141, v45
	v_fmac_f32_e32 v80, 0x3e9e377a, v152
	v_fmac_f32_e32 v48, 0x3e9e377a, v152
	;; [unrolled: 1-line block ×4, first 2 shown]
	v_mul_u32_u24_sdwa v3, v63, v69 dst_sel:DWORD dst_unused:UNUSED_PAD src0_sel:WORD_0 src1_sel:DWORD
	v_fma_f32 v46, -0.5, v158, v46
	v_fmac_f32_e32 v47, -0.5, v167
	v_sub_f32_e32 v148, v118, v120
	v_sub_f32_e32 v157, v144, v98
	v_sub_f32_e32 v160, v98, v144
	v_add_f32_e32 v119, v85, v119
	v_fmamk_f32 v85, v146, 0x3f737871, v51
	v_fmac_f32_e32 v51, 0xbf737871, v146
	v_fmamk_f32 v94, v117, 0x3f737871, v86
	v_fmac_f32_e32 v86, 0xbf737871, v117
	;; [unrolled: 2-line block ×5, first 2 shown]
	ds_write2_b64 v60, v[90:91], v[78:79] offset1:13
	ds_write2_b64 v60, v[80:81], v[48:49] offset0:26 offset1:39
	v_lshl_add_u32 v49, v2, 3, v210
	v_mul_u32_u24_sdwa v2, v67, v69 dst_sel:DWORD dst_unused:UNUSED_PAD src0_sel:WORD_0 src1_sel:DWORD
	v_fmamk_f32 v96, v122, 0xbf737871, v44
	v_fmac_f32_e32 v44, 0x3f737871, v122
	v_add_f32_e32 v105, v97, v118
	v_fmamk_f32 v97, v140, 0x3f737871, v45
	v_fmac_f32_e32 v45, 0xbf737871, v140
	v_fmamk_f32 v103, v72, 0xbf737871, v133
	v_fmac_f32_e32 v133, 0x3f737871, v72
	v_add_nc_u32_sdwa v3, v3, v66 dst_sel:DWORD dst_unused:UNUSED_PAD src0_sel:DWORD src1_sel:BYTE_0
	v_mul_u32_u24_sdwa v48, v64, v69 dst_sel:DWORD dst_unused:UNUSED_PAD src0_sel:WORD_0 src1_sel:DWORD
	v_fmamk_f32 v100, v155, 0xbf737871, v46
	v_fmac_f32_e32 v46, 0x3f737871, v155
	v_fmamk_f32 v101, v164, 0x3f737871, v47
	v_fmac_f32_e32 v47, 0xbf737871, v164
	v_add_f32_e32 v141, v147, v148
	v_add_f32_e32 v147, v156, v157
	;; [unrolled: 1-line block ×3, first 2 shown]
	v_fmac_f32_e32 v85, 0xbf167918, v145
	v_fmac_f32_e32 v51, 0x3f167918, v145
	v_add_f32_e32 v104, v216, v142
	v_fmac_f32_e32 v94, 0x3f167918, v122
	v_fmac_f32_e32 v86, 0xbf167918, v122
	;; [unrolled: 1-line block ×6, first 2 shown]
	v_add_nc_u32_sdwa v2, v2, v62 dst_sel:DWORD dst_unused:UNUSED_PAD src0_sel:DWORD src1_sel:BYTE_0
	v_fmac_f32_e32 v96, 0x3f167918, v117
	v_fmac_f32_e32 v44, 0xbf167918, v117
	;; [unrolled: 1-line block ×7, first 2 shown]
	v_add_f32_e32 v71, v71, v112
	v_fmac_f32_e32 v133, 0x3f167918, v70
	v_lshl_add_u32 v57, v3, 3, v210
	v_add_nc_u32_sdwa v3, v48, v65 dst_sel:DWORD dst_unused:UNUSED_PAD src0_sel:DWORD src1_sel:BYTE_0
	v_add_f32_e32 v148, v159, v160
	v_add_f32_e32 v149, v205, v206
	v_fmac_f32_e32 v100, 0x3f167918, v154
	v_fmac_f32_e32 v46, 0xbf167918, v154
	;; [unrolled: 1-line block ×4, first 2 shown]
	v_add_f32_e32 v93, v119, v121
	v_fmac_f32_e32 v74, 0x3e9e377a, v151
	v_fmac_f32_e32 v85, 0x3e9e377a, v115
	v_fmac_f32_e32 v51, 0x3e9e377a, v115
	v_add_f32_e32 v104, v104, v143
	v_add_f32_e32 v105, v105, v120
	v_fmac_f32_e32 v94, 0x3e9e377a, v217
	v_fmac_f32_e32 v86, 0x3e9e377a, v217
	;; [unrolled: 1-line block ×6, first 2 shown]
	v_lshl_add_u32 v48, v2, 3, v210
	v_fmac_f32_e32 v96, 0x3e9e377a, v218
	v_fmac_f32_e32 v44, 0x3e9e377a, v218
	;; [unrolled: 1-line block ×6, first 2 shown]
	v_add_f32_e32 v109, v73, v68
	v_fmac_f32_e32 v103, 0x3e9e377a, v71
	v_fmac_f32_e32 v133, 0x3e9e377a, v71
	v_lshl_add_u32 v2, v3, 3, v210
	v_fmac_f32_e32 v100, 0x3e9e377a, v148
	v_fmac_f32_e32 v46, 0x3e9e377a, v148
	;; [unrolled: 1-line block ×4, first 2 shown]
	buffer_store_dword v60, off, s[16:19], 0 offset:72 ; 4-byte Folded Spill
	ds_write_b64 v60, v[74:75] offset:416
	ds_write2_b64 v49, v[92:93], v[82:83] offset1:13
	ds_write2_b64 v49, v[84:85], v[50:51] offset0:26 offset1:39
	buffer_store_dword v49, off, s[16:19], 0 offset:76 ; 4-byte Folded Spill
	ds_write_b64 v49, v[76:77] offset:416
	ds_write2_b64 v57, v[104:105], v[94:95] offset1:13
	ds_write2_b64 v57, v[96:97], v[44:45] offset0:26 offset1:39
	;; [unrolled: 4-line block ×4, first 2 shown]
	v_add_nc_u32_e32 v0, 0xc00, v209
	buffer_store_dword v2, off, s[16:19], 0 offset:80 ; 4-byte Folded Spill
	ds_write_b64 v2, v[132:133] offset:416
	s_waitcnt lgkmcnt(0)
	s_waitcnt_vscnt null, 0x0
	s_barrier
	buffer_gl0_inv
	ds_read2_b64 v[88:91], v209 offset1:39
	ds_read2_b64 v[108:111], v59 offset0:69 offset1:108
	ds_read2_b64 v[112:115], v56 offset0:138 offset1:177
	;; [unrolled: 1-line block ×11, first 2 shown]
                                        ; implicit-def: $vgpr134
	s_and_saveexec_b32 s1, s0
	s_cbranch_execz .LBB0_9
; %bb.8:
	ds_read_b64 v[132:133], v209 offset:2496
	ds_read_b64 v[124:125], v209 offset:5096
	;; [unrolled: 1-line block ×3, first 2 shown]
.LBB0_9:
	s_or_b32 exec_lo, exec_lo, s1
	v_add_co_u32 v2, s1, 0xffffffe6, v187
	v_add_co_ci_u32_e64 v3, null, 0, -1, s1
	v_cmp_gt_u16_e64 s1, 26, v187
	v_lshlrev_b64 v[0:1], 4, v[187:188]
	v_add_nc_u32_e32 v64, 0x138, v187
	v_mov_b32_e32 v149, 0xc3
	v_cndmask_b32_e64 v141, v3, v52, s1
	v_cndmask_b32_e64 v140, v2, v138, s1
	v_add_co_u32 v0, s2, s4, v0
	v_add_co_ci_u32_e64 v1, s2, s5, v1, s2
	v_lshlrev_b64 v[2:3], 4, v[140:141]
	v_mul_lo_u16 v52, 0xfd, v53
	s_clause 0x1
	global_load_dwordx4 v[48:51], v[0:1], off offset:416
	global_load_dwordx4 v[44:47], v[0:1], off offset:624
	v_add_co_u32 v0, s1, s4, v2
	v_add_co_ci_u32_e64 v1, s1, s5, v3, s1
	v_lshrrev_b16 v141, 14, v52
	v_mul_lo_u16 v2, 0xfd, v54
	v_add_nc_u32_e32 v3, 0x111, v187
	global_load_dwordx4 v[56:59], v[0:1], off offset:416
	v_mov_b32_e32 v1, 4
	v_mul_lo_u16 v0, 0x41, v141
	v_mul_u32_u24_sdwa v141, v141, v149 dst_sel:DWORD dst_unused:UNUSED_PAD src0_sel:WORD_0 src1_sel:DWORD
	v_sub_nc_u16 v142, v128, v0
	v_lshrrev_b16 v0, 14, v2
	v_mov_b32_e32 v2, 0xfc1
	v_lshlrev_b32_sdwa v1, v1, v142 dst_sel:DWORD dst_unused:UNUSED_PAD src0_sel:DWORD src1_sel:BYTE_0
	v_mul_lo_u16 v0, 0x41, v0
	v_mul_u32_u24_sdwa v67, v3, v2 dst_sel:DWORD dst_unused:UNUSED_PAD src0_sel:WORD_0 src1_sel:DWORD
	v_add_nc_u32_sdwa v141, v141, v142 dst_sel:DWORD dst_unused:UNUSED_PAD src0_sel:DWORD src1_sel:BYTE_0
	global_load_dwordx4 v[52:55], v1, s[4:5] offset:416
	v_sub_nc_u16 v0, v126, v0
	v_lshl_add_u32 v165, v141, 3, v210
	v_and_b32_e32 v143, 0xff, v0
	v_add_co_u32 v0, null, 0xea, v187
	v_lshlrev_b32_e32 v60, 4, v143
	v_mul_u32_u24_sdwa v66, v0, v2 dst_sel:DWORD dst_unused:UNUSED_PAD src0_sel:WORD_0 src1_sel:DWORD
	v_mul_u32_u24_sdwa v2, v64, v2 dst_sel:DWORD dst_unused:UNUSED_PAD src0_sel:WORD_0 src1_sel:DWORD
	v_lshl_add_u32 v164, v143, 3, v210
	global_load_dwordx4 v[60:63], v60, s[4:5] offset:416
	v_add_nc_u16 v1, v187, 0xc3
	v_lshrrev_b32_e32 v144, 18, v66
	v_lshrrev_b32_e32 v66, 18, v67
	v_lshrrev_b32_e32 v2, 18, v2
	v_and_b32_e32 v65, 0xff, v1
	v_mul_lo_u16 v67, 0x41, v144
	v_mul_lo_u16 v66, 0x41, v66
	;; [unrolled: 1-line block ×4, first 2 shown]
	v_sub_nc_u16 v145, v0, v67
	v_sub_nc_u16 v146, v3, v66
	;; [unrolled: 1-line block ×3, first 2 shown]
	v_lshrrev_b16 v65, 14, v65
	v_mad_u16 v142, 0xc3, v144, v145
	v_lshlrev_b16 v2, 4, v146
	v_lshlrev_b16 v3, 4, v147
	v_and_b32_e32 v144, 0xffff, v146
	v_mul_lo_u16 v65, 0x41, v65
	v_and_b32_e32 v141, 0xffff, v147
	v_and_b32_e32 v2, 0xffff, v2
	;; [unrolled: 1-line block ×3, first 2 shown]
	v_lshl_add_u32 v161, v144, 3, v210
	v_sub_nc_u16 v0, v1, v65
	v_lshlrev_b16 v1, 4, v145
	v_and_b32_e32 v148, 0xff, v0
	v_and_b32_e32 v0, 0xffff, v1
	v_lshlrev_b32_e32 v3, 4, v148
	v_add_co_u32 v0, s1, s4, v0
	v_add_co_ci_u32_e64 v1, null, s5, 0, s1
	v_add_co_u32 v2, s1, s4, v2
	s_clause 0x1
	global_load_dwordx4 v[72:75], v3, s[4:5] offset:416
	global_load_dwordx4 v[68:71], v[0:1], off offset:416
	v_add_co_ci_u32_e64 v3, null, s5, 0, s1
	v_add_co_u32 v0, s1, s4, v64
	v_add_co_ci_u32_e64 v1, null, s5, 0, s1
	s_clause 0x1
	global_load_dwordx4 v[64:67], v[2:3], off offset:416
	global_load_dwordx4 v[0:3], v[0:1], off offset:416
	v_cmp_lt_u16_e64 s1, 25, v187
	v_lshl_add_u32 v163, v148, 3, v210
	buffer_store_dword v141, off, s[16:19], 0 offset:92 ; 4-byte Folded Spill
	s_waitcnt vmcnt(0) lgkmcnt(0)
	s_waitcnt_vscnt null, 0x0
	s_barrier
	v_cndmask_b32_e64 v150, 0, 0xc3, s1
	buffer_gl0_inv
	v_add_nc_u32_e32 v141, 0x800, v164
	v_add_nc_u32_e32 v140, v140, v150
	v_lshl_add_u32 v166, v140, 3, v210
	v_and_b32_e32 v140, 0xffff, v142
	v_add_nc_u32_e32 v142, 0x1000, v163
	v_lshl_add_u32 v162, v140, 3, v210
	v_add_nc_u32_e32 v140, 0x1800, v161
	v_mul_f32_e32 v143, v109, v49
	v_mul_f32_e32 v144, v108, v49
	;; [unrolled: 1-line block ×8, first 2 shown]
	v_fma_f32 v108, v108, v48, -v143
	v_fmac_f32_e32 v144, v109, v48
	v_fma_f32 v109, v112, v50, -v145
	v_fmac_f32_e32 v146, v113, v50
	;; [unrolled: 2-line block ×4, first 2 shown]
	v_mul_f32_e32 v116, v111, v57
	v_mul_f32_e32 v117, v110, v57
	;; [unrolled: 1-line block ×4, first 2 shown]
	v_add_f32_e32 v145, v108, v109
	v_sub_f32_e32 v147, v144, v146
	v_add_f32_e32 v149, v89, v144
	v_add_f32_e32 v144, v144, v146
	;; [unrolled: 1-line block ×3, first 2 shown]
	v_sub_f32_e32 v151, v108, v109
	v_add_f32_e32 v152, v84, v112
	v_mul_f32_e32 v158, v122, v53
	v_mul_f32_e32 v160, v118, v55
	v_add_f32_e32 v153, v112, v113
	v_sub_f32_e32 v154, v148, v150
	v_add_f32_e32 v155, v85, v148
	v_add_f32_e32 v148, v148, v150
	v_mul_f32_e32 v157, v123, v53
	v_mul_f32_e32 v159, v119, v55
	v_fma_f32 v116, v110, v56, -v116
	v_fmac_f32_e32 v117, v111, v56
	v_fma_f32 v120, v114, v58, -v120
	v_fmac_f32_e32 v121, v115, v58
	v_fma_f32 v88, -0.5, v145, v88
	v_fma_f32 v89, -0.5, v144, v89
	v_fmac_f32_e32 v158, v123, v52
	v_fmac_f32_e32 v160, v119, v54
	v_mul_f32_e32 v123, v92, v61
	v_mul_f32_e32 v144, v100, v63
	v_sub_f32_e32 v156, v112, v113
	v_add_f32_e32 v108, v143, v109
	v_add_f32_e32 v109, v149, v146
	;; [unrolled: 1-line block ×3, first 2 shown]
	v_fma_f32 v112, -0.5, v153, v84
	v_fma_f32 v113, -0.5, v148, v85
	v_fma_f32 v122, v122, v52, -v157
	v_fma_f32 v118, v118, v54, -v159
	v_mul_f32_e32 v119, v93, v61
	v_mul_f32_e32 v143, v101, v63
	v_fmamk_f32 v84, v147, 0x3f5db3d7, v88
	v_fmac_f32_e32 v88, 0xbf5db3d7, v147
	v_fmamk_f32 v85, v151, 0xbf5db3d7, v89
	v_fmac_f32_e32 v89, 0x3f5db3d7, v151
	v_add_f32_e32 v145, v90, v116
	v_add_f32_e32 v146, v116, v120
	v_sub_f32_e32 v147, v117, v121
	v_add_f32_e32 v148, v91, v117
	v_add_f32_e32 v117, v117, v121
	v_fmac_f32_e32 v123, v93, v60
	v_fmac_f32_e32 v144, v101, v62
	v_add_f32_e32 v151, v158, v160
	v_add_f32_e32 v111, v155, v150
	v_sub_f32_e32 v116, v116, v120
	v_fmamk_f32 v114, v154, 0x3f5db3d7, v112
	v_fmac_f32_e32 v112, 0xbf5db3d7, v154
	v_fmamk_f32 v115, v156, 0xbf5db3d7, v113
	v_fmac_f32_e32 v113, 0x3f5db3d7, v156
	v_fma_f32 v119, v92, v60, -v119
	v_fma_f32 v143, v100, v62, -v143
	v_add_f32_e32 v100, v86, v122
	v_add_f32_e32 v101, v122, v118
	v_sub_f32_e32 v149, v158, v160
	v_add_f32_e32 v150, v87, v158
	v_add_f32_e32 v92, v145, v120
	v_fma_f32 v90, -0.5, v146, v90
	v_add_f32_e32 v93, v148, v121
	v_fmac_f32_e32 v91, -0.5, v117
	ds_write2_b64 v209, v[108:109], v[84:85] offset1:65
	ds_write_b64 v209, v[88:89] offset:1040
	v_fmac_f32_e32 v87, -0.5, v151
	v_sub_f32_e32 v151, v123, v144
	v_mul_f32_e32 v88, v95, v73
	v_mul_f32_e32 v117, v94, v73
	;; [unrolled: 1-line block ×8, first 2 shown]
	v_add_f32_e32 v158, v77, v123
	v_mul_f32_e32 v152, v99, v65
	v_mul_f32_e32 v153, v98, v65
	;; [unrolled: 1-line block ×8, first 2 shown]
	v_add_f32_e32 v123, v123, v144
	v_sub_f32_e32 v122, v122, v118
	v_add_f32_e32 v100, v100, v118
	v_fma_f32 v86, -0.5, v101, v86
	v_add_f32_e32 v101, v150, v160
	v_add_f32_e32 v118, v76, v119
	;; [unrolled: 1-line block ×3, first 2 shown]
	v_sub_f32_e32 v119, v119, v143
	v_fmamk_f32 v108, v147, 0x3f5db3d7, v90
	v_fmac_f32_e32 v90, 0xbf5db3d7, v147
	v_fmamk_f32 v109, v116, 0xbf5db3d7, v91
	v_fmac_f32_e32 v91, 0x3f5db3d7, v116
	v_fma_f32 v116, v94, v72, -v88
	v_fmac_f32_e32 v117, v95, v72
	v_fma_f32 v102, v102, v74, -v89
	v_fmac_f32_e32 v120, v103, v74
	v_fma_f32 v103, v96, v68, -v121
	v_fmac_f32_e32 v145, v97, v68
	v_fma_f32 v104, v104, v70, -v146
	v_fmac_f32_e32 v148, v105, v70
	v_fma_f32 v98, v98, v64, -v152
	v_fmac_f32_e32 v153, v99, v64
	v_fma_f32 v99, v106, v66, -v154
	v_fmac_f32_e32 v155, v107, v66
	v_fma_f32 v89, v124, v0, -v156
	v_fmac_f32_e32 v85, v125, v0
	v_fma_f32 v88, v134, v2, -v157
	v_fmac_f32_e32 v84, v135, v2
	v_fma_f32 v77, -0.5, v123, v77
	v_fmamk_f32 v95, v122, 0xbf5db3d7, v87
	v_fmac_f32_e32 v87, 0x3f5db3d7, v122
	v_add_f32_e32 v96, v118, v143
	v_fma_f32 v76, -0.5, v150, v76
	ds_write2_b64 v166, v[92:93], v[108:109] offset1:65
	buffer_store_dword v166, off, s[16:19], 0 offset:116 ; 4-byte Folded Spill
	ds_write_b64 v166, v[90:91] offset:1040
	ds_write2_b64 v139, v[110:111], v[114:115] offset0:80 offset1:145
	ds_write_b64 v209, v[112:113] offset:2704
	v_fmamk_f32 v91, v119, 0xbf5db3d7, v77
	v_fmac_f32_e32 v77, 0x3f5db3d7, v119
	v_add_f32_e32 v93, v116, v102
	v_add_f32_e32 v107, v117, v120
	;; [unrolled: 1-line block ×8, first 2 shown]
	v_fmamk_f32 v94, v149, 0x3f5db3d7, v86
	v_fmac_f32_e32 v86, 0xbf5db3d7, v149
	v_add_f32_e32 v97, v158, v144
	v_fmamk_f32 v90, v151, 0x3f5db3d7, v76
	v_fmac_f32_e32 v76, 0xbf5db3d7, v151
	v_add_f32_e32 v92, v78, v116
	v_sub_f32_e32 v105, v117, v120
	v_add_f32_e32 v106, v79, v117
	v_sub_f32_e32 v108, v116, v102
	v_add_f32_e32 v109, v80, v103
	v_sub_f32_e32 v111, v145, v148
	v_add_f32_e32 v112, v81, v145
	v_sub_f32_e32 v103, v103, v104
	v_add_f32_e32 v114, v82, v98
	v_sub_f32_e32 v116, v153, v155
	v_add_f32_e32 v117, v83, v153
	v_sub_f32_e32 v98, v98, v99
	v_sub_f32_e32 v121, v85, v84
	v_sub_f32_e32 v123, v89, v88
	v_fma_f32 v78, -0.5, v93, v78
	v_fmac_f32_e32 v79, -0.5, v107
	v_fma_f32 v80, -0.5, v110, v80
	v_fma_f32 v81, -0.5, v113, v81
	;; [unrolled: 1-line block ×3, first 2 shown]
	v_fmac_f32_e32 v83, -0.5, v118
	v_fma_f32 v205, -0.5, v119, v132
	v_fma_f32 v206, -0.5, v122, v133
	ds_write2_b64 v165, v[100:101], v[94:95] offset1:65
	ds_write_b64 v165, v[86:87] offset:1040
	v_add_f32_e32 v86, v92, v102
	v_add_f32_e32 v87, v106, v120
	ds_write2_b64 v141, v[96:97], v[90:91] offset0:134 offset1:199
	ds_write_b64 v164, v[76:77] offset:4160
	v_fmamk_f32 v76, v105, 0x3f5db3d7, v78
	v_fmac_f32_e32 v78, 0xbf5db3d7, v105
	v_fmamk_f32 v77, v108, 0xbf5db3d7, v79
	v_fmac_f32_e32 v79, 0x3f5db3d7, v108
	;; [unrolled: 2-line block ×8, first 2 shown]
	v_add_f32_e32 v92, v109, v104
	v_add_f32_e32 v93, v112, v148
	;; [unrolled: 1-line block ×4, first 2 shown]
	buffer_store_dword v165, off, s[16:19], 0 offset:112 ; 4-byte Folded Spill
	buffer_store_dword v164, off, s[16:19], 0 offset:108 ; 4-byte Folded Spill
	ds_write2_b64 v142, v[86:87], v[76:77] offset0:73 offset1:138
	buffer_store_dword v163, off, s[16:19], 0 offset:104 ; 4-byte Folded Spill
	ds_write_b64 v163, v[78:79] offset:5720
	ds_write2_b64 v162, v[92:93], v[90:91] offset1:65
	buffer_store_dword v162, off, s[16:19], 0 offset:100 ; 4-byte Folded Spill
	ds_write_b64 v162, v[80:81] offset:1040
	ds_write2_b64 v140, v[94:95], v[96:97] offset0:12 offset1:77
	buffer_store_dword v161, off, s[16:19], 0 offset:96 ; 4-byte Folded Spill
	ds_write_b64 v161, v[82:83] offset:7280
	s_and_saveexec_b32 s1, s0
	s_cbranch_execz .LBB0_11
; %bb.10:
	buffer_load_dword v77, off, s[16:19], 0 offset:92 ; 4-byte Folded Reload
	v_add_f32_e32 v76, v133, v85
	v_add_f32_e32 v78, v132, v89
	s_waitcnt vmcnt(0)
	v_lshl_add_u32 v79, v77, 3, v210
	v_add_f32_e32 v77, v76, v84
	v_add_f32_e32 v76, v78, v88
	v_add_nc_u32_e32 v78, 0x1800, v79
	ds_write2_b64 v78, v[76:77], v[118:119] offset0:12 offset1:77
	ds_write_b64 v79, v[205:206] offset:7280
.LBB0_11:
	s_or_b32 exec_lo, exec_lo, s1
	v_lshlrev_b64 v[92:93], 5, v[130:131]
	v_lshlrev_b64 v[94:95], 5, v[128:129]
	v_lshlrev_b32_e32 v76, 5, v187
	v_lshlrev_b32_e32 v88, 5, v138
	s_waitcnt lgkmcnt(0)
	s_waitcnt_vscnt null, 0x0
	s_barrier
	v_add_co_u32 v92, s1, s4, v92
	v_add_co_ci_u32_e64 v93, s1, s5, v93, s1
	v_add_co_u32 v116, s1, s4, v94
	buffer_gl0_inv
	s_clause 0x2
	global_load_dwordx4 v[84:87], v76, s[4:5] offset:1456
	global_load_dwordx4 v[80:83], v76, s[4:5] offset:1472
	global_load_dwordx4 v[76:79], v88, s[4:5] offset:1456
	v_add_co_ci_u32_e64 v117, s1, s5, v95, s1
	s_clause 0x2
	global_load_dwordx4 v[88:91], v88, s[4:5] offset:1472
	global_load_dwordx4 v[100:103], v[92:93], off offset:1456
	global_load_dwordx4 v[96:99], v[92:93], off offset:1472
	v_add_nc_u32_e32 v142, 0x800, v209
	global_load_dwordx4 v[92:95], v[116:117], off offset:1456
	v_add_nc_u32_e32 v144, 0x1800, v209
	v_add_nc_u32_e32 v143, 0x1000, v209
	;; [unrolled: 1-line block ×3, first 2 shown]
	ds_read2_b64 v[104:107], v142 offset0:134 offset1:173
	ds_read2_b64 v[108:111], v144 offset0:12 offset1:51
	;; [unrolled: 1-line block ×5, first 2 shown]
	s_waitcnt vmcnt(6) lgkmcnt(4)
	v_mul_f32_e32 v124, v105, v87
	s_waitcnt vmcnt(5) lgkmcnt(3)
	v_mul_f32_e32 v125, v109, v83
	s_waitcnt vmcnt(4)
	v_mul_f32_e32 v131, v107, v79
	v_mul_f32_e32 v129, v108, v83
	;; [unrolled: 1-line block ×4, first 2 shown]
	v_fma_f32 v133, v108, v82, -v125
	v_fma_f32 v135, v106, v78, -v131
	s_waitcnt vmcnt(0) lgkmcnt(0)
	v_mul_f32_e32 v106, v161, v95
	v_fmac_f32_e32 v130, v107, v78
	v_fmac_f32_e32 v129, v109, v82
	v_fma_f32 v132, v104, v86, -v124
	v_mul_f32_e32 v104, v111, v91
	v_fma_f32 v146, v160, v94, -v106
	ds_read2_b64 v[106:109], v144 offset0:90 offset1:129
	v_fmac_f32_e32 v128, v105, v86
	v_mul_f32_e32 v105, v121, v89
	v_fma_f32 v148, v110, v90, -v104
	v_mul_f32_e32 v104, v115, v101
	v_mul_f32_e32 v155, v158, v103
	;; [unrolled: 1-line block ×3, first 2 shown]
	v_fma_f32 v150, v120, v88, -v105
	v_mul_f32_e32 v105, v123, v97
	v_fma_f32 v154, v114, v100, -v104
	v_mul_f32_e32 v104, v159, v103
	v_fmac_f32_e32 v155, v159, v102
	v_mul_f32_e32 v138, v113, v77
	v_fma_f32 v156, v122, v96, -v105
	v_mul_f32_e32 v134, v112, v77
	v_fma_f32 v158, v158, v102, -v104
	;; [unrolled: 2-line block ×3, first 2 shown]
	v_mul_f32_e32 v147, v120, v89
	v_fmac_f32_e32 v134, v113, v76
	s_waitcnt lgkmcnt(0)
	v_mul_f32_e32 v104, v107, v99
	v_mul_f32_e32 v159, v106, v99
	v_fmac_f32_e32 v140, v111, v90
	v_fmac_f32_e32 v147, v121, v88
	;; [unrolled: 1-line block ×3, first 2 shown]
	v_fma_f32 v160, v106, v98, -v104
	v_fmac_f32_e32 v159, v107, v98
	global_load_dwordx4 v[104:107], v[116:117], off offset:1472
	v_mul_f32_e32 v151, v114, v101
	v_mul_f32_e32 v152, v122, v97
	v_sub_f32_e32 v219, v130, v147
	v_sub_f32_e32 v220, v135, v150
	;; [unrolled: 1-line block ×3, first 2 shown]
	v_fmac_f32_e32 v151, v115, v100
	v_fmac_f32_e32 v152, v123, v96
	v_sub_f32_e32 v240, v154, v160
	v_sub_f32_e32 v244, v158, v156
	;; [unrolled: 1-line block ×4, first 2 shown]
	s_waitcnt vmcnt(0)
	v_mul_f32_e32 v110, v109, v107
	v_mul_f32_e32 v141, v108, v107
	v_fma_f32 v153, v108, v106, -v110
	ds_read2_b64 v[110:113], v142 offset0:56 offset1:95
	v_fmac_f32_e32 v141, v109, v106
	v_lshlrev_b64 v[108:109], 5, v[126:127]
	ds_read2_b64 v[124:127], v209 offset1:39
	v_add_co_u32 v120, s1, s4, v108
	v_add_co_ci_u32_e64 v121, s1, s5, v109, s1
	s_waitcnt lgkmcnt(1)
	v_mul_f32_e32 v108, v111, v93
	v_mul_f32_e32 v157, v110, v93
	v_fma_f32 v161, v110, v92, -v108
	v_fmac_f32_e32 v157, v111, v92
	global_load_dwordx4 v[108:111], v[120:121], off offset:1456
	v_sub_f32_e32 v242, v161, v153
	v_sub_f32_e32 v241, v157, v141
	s_waitcnt vmcnt(0)
	v_mul_f32_e32 v114, v113, v109
	v_mul_f32_e32 v162, v112, v109
	v_fma_f32 v163, v112, v108, -v114
	v_fmac_f32_e32 v162, v113, v108
	ds_read2_b64 v[112:115], v143 offset0:34 offset1:73
	s_waitcnt lgkmcnt(0)
	v_mul_f32_e32 v116, v115, v81
	v_mul_f32_e32 v138, v114, v81
	;; [unrolled: 1-line block ×3, first 2 shown]
	v_fma_f32 v139, v114, v80, -v116
	v_mul_f32_e32 v114, v113, v111
	v_fmac_f32_e32 v138, v115, v80
	v_fmac_f32_e32 v164, v113, v110
	v_sub_f32_e32 v230, v132, v139
	v_fma_f32 v165, v112, v110, -v114
	ds_read2_b64 v[114:117], v143 offset0:190 offset1:229
	v_sub_f32_e32 v229, v128, v138
	s_waitcnt lgkmcnt(0)
	v_mul_f32_e32 v112, v115, v105
	v_mul_f32_e32 v225, v114, v105
	v_fma_f32 v226, v114, v104, -v112
	v_fmac_f32_e32 v225, v115, v104
	global_load_dwordx4 v[112:115], v[120:121], off offset:1472
	v_sub_f32_e32 v246, v146, v226
	v_sub_f32_e32 v245, v131, v225
	s_waitcnt vmcnt(0)
	v_mul_f32_e32 v120, v117, v113
	v_mul_f32_e32 v166, v116, v113
	v_fma_f32 v167, v116, v112, -v120
	ds_read2_b64 v[120:123], v209 offset0:156 offset1:195
	v_fmac_f32_e32 v166, v117, v112
	v_sub_f32_e32 v117, v133, v139
	v_sub_f32_e32 v211, v165, v167
	;; [unrolled: 1-line block ×3, first 2 shown]
	s_waitcnt lgkmcnt(0)
	v_mul_f32_e32 v116, v123, v85
	v_mul_f32_e32 v231, v122, v85
	v_fma_f32 v208, v122, v84, -v116
	v_fmac_f32_e32 v231, v123, v84
	v_sub_f32_e32 v123, v129, v138
	v_sub_f32_e32 v116, v208, v132
	;; [unrolled: 1-line block ×6, first 2 shown]
	v_add_f32_e32 v207, v116, v117
	v_add_f32_e32 v116, v132, v139
	;; [unrolled: 1-line block ×4, first 2 shown]
	v_fma_f32 v116, -0.5, v116, v124
	v_fma_f32 v117, -0.5, v117, v125
	v_fmamk_f32 v122, v227, 0x3f737871, v116
	v_fmamk_f32 v123, v228, 0xbf737871, v117
	v_fmac_f32_e32 v116, 0xbf737871, v227
	v_fmac_f32_e32 v117, 0x3f737871, v228
	;; [unrolled: 1-line block ×10, first 2 shown]
	v_lshl_add_u32 v224, v137, 3, v136
	ds_write_b64 v209, v[122:123] offset:1560
	v_add_f32_e32 v122, v124, v208
	v_add_f32_e32 v123, v125, v231
	;; [unrolled: 1-line block ×3, first 2 shown]
	ds_write_b64 v209, v[116:117] offset:6240
	v_add_f32_e32 v116, v126, v149
	v_add_f32_e32 v122, v122, v132
	;; [unrolled: 1-line block ×4, first 2 shown]
	v_sub_f32_e32 v128, v128, v231
	v_add_f32_e32 v116, v116, v135
	v_add_f32_e32 v122, v122, v139
	;; [unrolled: 1-line block ×3, first 2 shown]
	v_sub_f32_e32 v139, v139, v133
	v_add_f32_e32 v117, v117, v130
	v_add_f32_e32 v116, v116, v150
	v_add_f32_e32 v132, v122, v133
	v_add_f32_e32 v133, v123, v129
	v_add_f32_e32 v123, v231, v129
	v_fma_f32 v122, -0.5, v208, v124
	v_sub_f32_e32 v129, v138, v129
	v_add_f32_e32 v138, v217, v139
	v_add_f32_e32 v117, v117, v147
	v_fma_f32 v123, -0.5, v123, v125
	v_fmamk_f32 v124, v229, 0xbf737871, v122
	v_fmac_f32_e32 v122, 0x3f737871, v229
	v_add_f32_e32 v128, v128, v129
	v_add_f32_e32 v116, v116, v148
	v_fmamk_f32 v125, v230, 0x3f737871, v123
	v_fmac_f32_e32 v123, 0xbf737871, v230
	v_fmac_f32_e32 v124, 0x3f167918, v227
	v_fmac_f32_e32 v122, 0xbf167918, v227
	v_add_f32_e32 v117, v117, v140
	v_fmac_f32_e32 v125, 0xbf167918, v228
	v_fmac_f32_e32 v123, 0x3f167918, v228
	;; [unrolled: 1-line block ×4, first 2 shown]
	v_sub_f32_e32 v231, v134, v140
	v_fmac_f32_e32 v125, 0x3e9e377a, v128
	v_fmac_f32_e32 v123, 0x3e9e377a, v128
	v_add_nc_u32_e32 v247, 0x800, v224
	ds_write_b64 v209, v[124:125] offset:3120
	ds_write_b64 v209, v[122:123] offset:4680
	ds_read_b64 v[128:129], v209 offset:7488
	ds_read2_b64 v[122:125], v209 offset0:78 offset1:117
	ds_write2_b64 v209, v[132:133], v[116:117] offset1:39
	v_add_f32_e32 v116, v135, v150
	v_add_f32_e32 v117, v149, v148
	v_fma_f32 v227, -0.5, v116, v126
	v_fma_f32 v126, -0.5, v117, v126
	v_sub_f32_e32 v116, v135, v149
	v_sub_f32_e32 v117, v150, v148
	;; [unrolled: 1-line block ×3, first 2 shown]
	v_fmamk_f32 v229, v219, 0xbf737871, v126
	v_fmac_f32_e32 v126, 0x3f737871, v219
	v_add_f32_e32 v217, v116, v117
	v_add_f32_e32 v116, v130, v147
	v_sub_f32_e32 v117, v147, v140
	v_fmac_f32_e32 v229, 0x3f167918, v231
	v_fmac_f32_e32 v126, 0xbf167918, v231
	s_waitcnt lgkmcnt(2)
	v_mul_f32_e32 v234, v128, v115
	v_fma_f32 v228, -0.5, v116, v127
	v_add_f32_e32 v116, v134, v140
	v_fmac_f32_e32 v229, 0x3e9e377a, v217
	v_fmac_f32_e32 v126, 0x3e9e377a, v217
	;; [unrolled: 1-line block ×3, first 2 shown]
	v_fmac_f32_e32 v127, -0.5, v116
	v_sub_f32_e32 v116, v130, v134
	v_sub_f32_e32 v130, v134, v130
	;; [unrolled: 1-line block ×4, first 2 shown]
	v_fmamk_f32 v230, v220, 0x3f737871, v127
	v_add_f32_e32 v218, v116, v117
	v_mul_f32_e32 v116, v129, v115
	v_sub_f32_e32 v117, v160, v156
	v_fmac_f32_e32 v127, 0xbf737871, v220
	v_sub_f32_e32 v134, v140, v147
	v_fmac_f32_e32 v230, 0xbf167918, v232
	v_fma_f32 v233, v128, v114, -v116
	v_sub_f32_e32 v116, v154, v158
	v_fmac_f32_e32 v127, 0x3f167918, v232
	v_add_f32_e32 v130, v130, v134
	v_fmamk_f32 v134, v231, 0x3f737871, v227
	v_sub_f32_e32 v136, v233, v167
	v_add_f32_e32 v235, v116, v117
	v_add_f32_e32 v116, v158, v156
	;; [unrolled: 1-line block ×3, first 2 shown]
	v_fmac_f32_e32 v127, 0x3e9e377a, v218
	v_sub_f32_e32 v253, v163, v233
	v_fmac_f32_e32 v134, 0x3f167918, v219
	s_waitcnt lgkmcnt(1)
	v_fma_f32 v132, -0.5, v116, v122
	v_fma_f32 v133, -0.5, v117, v123
	v_sub_f32_e32 v116, v151, v155
	v_sub_f32_e32 v117, v159, v152
	ds_write_b64 v209, v[126:127] offset:4992
	v_fmac_f32_e32 v227, 0xbf737871, v231
	v_fmac_f32_e32 v230, 0x3e9e377a, v218
	v_add_f32_e32 v236, v116, v117
	v_sub_f32_e32 v116, v161, v146
	v_sub_f32_e32 v117, v153, v226
	v_fmac_f32_e32 v227, 0xbf167918, v219
	ds_write_b64 v209, v[229:230] offset:3432
	v_add_f32_e32 v237, v116, v117
	v_add_f32_e32 v116, v146, v226
	;; [unrolled: 1-line block ×3, first 2 shown]
	v_fma_f32 v126, -0.5, v116, v124
	v_fma_f32 v127, -0.5, v117, v125
	v_sub_f32_e32 v116, v157, v131
	v_sub_f32_e32 v117, v141, v225
	v_fmamk_f32 v128, v241, 0x3f737871, v126
	v_fmamk_f32 v129, v242, 0xbf737871, v127
	v_fmac_f32_e32 v126, 0xbf737871, v241
	v_add_f32_e32 v238, v116, v117
	v_fmamk_f32 v116, v239, 0x3f737871, v132
	v_fmamk_f32 v117, v240, 0xbf737871, v133
	v_fmac_f32_e32 v128, 0x3f167918, v245
	v_fmac_f32_e32 v129, 0xbf167918, v246
	;; [unrolled: 1-line block ×14, first 2 shown]
	ds_write2_b64 v247, v[116:117], v[128:129] offset0:17 offset1:56
	v_sub_f32_e32 v116, v158, v154
	v_sub_f32_e32 v117, v156, v160
	v_fmac_f32_e32 v132, 0x3e9e377a, v235
	v_fmac_f32_e32 v133, 0x3e9e377a, v236
	;; [unrolled: 1-line block ×4, first 2 shown]
	v_add_f32_e32 v248, v116, v117
	v_add_f32_e32 v116, v154, v160
	;; [unrolled: 1-line block ×3, first 2 shown]
	v_fmac_f32_e32 v127, 0x3e9e377a, v238
	v_fma_f32 v207, -0.5, v116, v122
	v_fma_f32 v208, -0.5, v117, v123
	v_sub_f32_e32 v116, v155, v151
	v_sub_f32_e32 v117, v152, v159
	v_add_f32_e32 v122, v122, v154
	v_add_f32_e32 v123, v123, v151
	;; [unrolled: 1-line block ×3, first 2 shown]
	v_sub_f32_e32 v117, v163, v165
	v_add_f32_e32 v116, v165, v167
	v_add_f32_e32 v122, v122, v158
	;; [unrolled: 1-line block ×5, first 2 shown]
	v_fma_f32 v116, -0.5, v116, v120
	v_sub_f32_e32 v136, v162, v164
	v_add_f32_e32 v122, v122, v156
	v_add_f32_e32 v123, v123, v152
	v_fma_f32 v117, -0.5, v117, v121
	v_fmamk_f32 v138, v252, 0x3f737871, v116
	v_add_f32_e32 v251, v136, v137
	v_fmamk_f32 v136, v243, 0xbf737871, v207
	v_fmamk_f32 v137, v244, 0x3f737871, v208
	;; [unrolled: 1-line block ×3, first 2 shown]
	v_fmac_f32_e32 v138, 0x3f167918, v254
	v_add_f32_e32 v122, v122, v160
	v_fmac_f32_e32 v136, 0x3f167918, v239
	v_fmac_f32_e32 v137, 0xbf167918, v240
	;; [unrolled: 1-line block ×4, first 2 shown]
	v_add_f32_e32 v123, v123, v159
	v_fmac_f32_e32 v136, 0x3e9e377a, v248
	v_fmac_f32_e32 v137, 0x3e9e377a, v249
	;; [unrolled: 1-line block ×7, first 2 shown]
	ds_write2_b64 v247, v[138:139], v[136:137] offset0:95 offset1:212
	v_sub_f32_e32 v136, v148, v150
	v_sub_f32_e32 v137, v167, v233
	v_fmac_f32_e32 v207, 0xbf167918, v239
	v_fmac_f32_e32 v208, 0x3f167918, v240
	;; [unrolled: 1-line block ×3, first 2 shown]
	v_add_f32_e32 v136, v135, v136
	v_fmamk_f32 v135, v232, 0xbf737871, v228
	v_fmac_f32_e32 v228, 0x3f737871, v232
	v_fmac_f32_e32 v207, 0x3e9e377a, v248
	;; [unrolled: 1-line block ×7, first 2 shown]
	v_sub_f32_e32 v136, v225, v141
	v_fmac_f32_e32 v117, 0x3f167918, v211
	v_fmac_f32_e32 v135, 0x3e9e377a, v130
	;; [unrolled: 1-line block ×3, first 2 shown]
	v_add_f32_e32 v130, v124, v161
	v_fmac_f32_e32 v116, 0x3e9e377a, v250
	v_fmac_f32_e32 v117, 0x3e9e377a, v251
	ds_write_b64 v209, v[134:135] offset:1872
	ds_write_b64 v209, v[227:228] offset:6552
	v_add_f32_e32 v130, v130, v146
	v_add_f32_e32 v130, v130, v226
	;; [unrolled: 1-line block ×7, first 2 shown]
	v_sub_f32_e32 v130, v226, v153
	ds_write2_b64 v209, v[122:123], v[134:135] offset0:78 offset1:117
	v_add_f32_e32 v123, v161, v153
	v_sub_f32_e32 v122, v146, v161
	v_sub_f32_e32 v146, v166, v234
	v_fma_f32 v124, -0.5, v123, v124
	v_add_f32_e32 v122, v122, v130
	v_add_f32_e32 v123, v157, v141
	v_fmamk_f32 v130, v245, 0xbf737871, v124
	v_fmac_f32_e32 v124, 0x3f737871, v245
	v_fmac_f32_e32 v125, -0.5, v123
	v_sub_f32_e32 v123, v131, v157
	v_fmac_f32_e32 v130, 0x3f167918, v241
	v_fmac_f32_e32 v124, 0xbf167918, v241
	v_fmamk_f32 v131, v246, 0x3f737871, v125
	v_fmac_f32_e32 v125, 0xbf737871, v246
	v_fmac_f32_e32 v130, 0x3e9e377a, v122
	;; [unrolled: 1-line block ×3, first 2 shown]
	v_add_f32_e32 v122, v123, v136
	v_add_f32_e32 v123, v120, v163
	v_fmac_f32_e32 v131, 0xbf167918, v242
	v_fmac_f32_e32 v125, 0x3f167918, v242
	v_add_f32_e32 v123, v123, v165
	v_fmac_f32_e32 v131, 0x3e9e377a, v122
	v_fmac_f32_e32 v125, 0x3e9e377a, v122
	v_add_f32_e32 v123, v123, v167
	v_add_f32_e32 v136, v123, v233
	;; [unrolled: 1-line block ×3, first 2 shown]
	v_fma_f32 v120, -0.5, v123, v120
	v_sub_f32_e32 v123, v165, v163
	v_fmamk_f32 v140, v254, 0xbf737871, v120
	v_add_f32_e32 v122, v123, v137
	v_add_f32_e32 v123, v121, v162
	v_fmac_f32_e32 v120, 0x3f737871, v254
	v_fmac_f32_e32 v140, 0x3f167918, v252
	v_add_f32_e32 v123, v123, v164
	v_fmac_f32_e32 v120, 0xbf167918, v252
	v_fmac_f32_e32 v140, 0x3e9e377a, v122
	v_add_f32_e32 v123, v123, v166
	v_fmac_f32_e32 v120, 0x3e9e377a, v122
	v_add_nc_u32_e32 v122, 0x1000, v224
	v_add_f32_e32 v137, v123, v234
	v_add_f32_e32 v123, v162, v234
	ds_write2_b64 v122, v[207:208], v[124:125] offset0:151 offset1:190
	v_add_nc_u32_e32 v122, 0xc00, v224
	v_fmac_f32_e32 v121, -0.5, v123
	v_sub_f32_e32 v123, v164, v162
	v_fmamk_f32 v141, v211, 0x3f737871, v121
	v_fmac_f32_e32 v121, 0xbf737871, v211
	v_add_f32_e32 v123, v123, v146
	v_fmac_f32_e32 v141, 0xbf167918, v253
	v_fmac_f32_e32 v121, 0x3f167918, v253
	;; [unrolled: 1-line block ×4, first 2 shown]
	ds_write2_b64 v122, v[130:131], v[140:141] offset0:123 offset1:162
	v_add_nc_u32_e32 v122, 0x1400, v224
	ds_write2_b64 v122, v[120:121], v[132:133] offset0:101 offset1:218
	v_add_nc_u32_e32 v122, 0x1800, v224
	ds_write2_b64 v122, v[126:127], v[116:117] offset0:129 offset1:168
	ds_write_b64 v209, v[136:137] offset:1248
	s_waitcnt lgkmcnt(0)
	s_barrier
	buffer_gl0_inv
	s_clause 0x1
	buffer_load_dword v122, off, s[16:19], 0
	buffer_load_dword v123, off, s[16:19], 0 offset:4
	ds_read2_b64 v[146:149], v209 offset1:75
	s_waitcnt vmcnt(0)
	global_load_dwordx2 v[122:123], v[122:123], off offset:1656
	s_waitcnt vmcnt(0) lgkmcnt(0)
	v_mul_f32_e32 v150, v147, v123
	v_mul_f32_e32 v154, v146, v123
	v_fma_f32 v153, v146, v122, -v150
	v_add_co_u32 v146, s1, 0x2000, v174
	v_fmac_f32_e32 v154, v147, v122
	v_add_co_ci_u32_e64 v147, s1, 0, v175, s1
	v_add_co_u32 v122, s1, 0x1e78, v174
	v_add_co_ci_u32_e64 v123, s1, 0, v175, s1
	s_clause 0x3
	global_load_dwordx2 v[150:151], v[146:147], off offset:2008
	global_load_dwordx2 v[146:147], v[122:123], off offset:600
	;; [unrolled: 1-line block ×4, first 2 shown]
	s_waitcnt vmcnt(2)
	v_mul_f32_e32 v152, v149, v147
	v_mul_f32_e32 v160, v148, v147
	v_fma_f32 v159, v148, v146, -v152
	v_fmac_f32_e32 v160, v149, v146
	ds_read2_b64 v[146:149], v209 offset0:150 offset1:225
	s_waitcnt vmcnt(1) lgkmcnt(0)
	v_mul_f32_e32 v152, v147, v156
	v_mul_f32_e32 v162, v146, v156
	s_waitcnt vmcnt(0)
	v_mul_f32_e32 v156, v148, v158
	v_fma_f32 v161, v146, v155, -v152
	v_mul_f32_e32 v146, v149, v158
	v_fmac_f32_e32 v162, v147, v155
	v_fmac_f32_e32 v156, v149, v157
	v_fma_f32 v155, v148, v157, -v146
	ds_read2_b64 v[146:149], v142 offset0:44 offset1:119
	s_waitcnt lgkmcnt(0)
	v_mul_f32_e32 v152, v147, v151
	v_mul_f32_e32 v158, v146, v151
	v_fma_f32 v157, v146, v150, -v152
	v_add_co_u32 v146, s1, 0x2800, v174
	v_fmac_f32_e32 v158, v147, v150
	v_add_co_ci_u32_e64 v147, s1, 0, v175, s1
	s_clause 0x2
	global_load_dwordx2 v[150:151], v[146:147], off offset:560
	global_load_dwordx2 v[163:164], v[146:147], off offset:1160
	;; [unrolled: 1-line block ×3, first 2 shown]
	v_add_co_u32 v225, s1, 0x3000, v174
	v_add_co_ci_u32_e64 v226, s1, 0, v175, s1
	global_load_dwordx2 v[227:228], v[225:226], off offset:312
	s_waitcnt vmcnt(3)
	v_mul_f32_e32 v146, v149, v151
	v_mul_f32_e32 v230, v148, v151
	v_fma_f32 v229, v148, v150, -v146
	v_add_nc_u32_e32 v146, 0xc00, v209
	v_fmac_f32_e32 v230, v149, v150
	ds_read2_b64 v[147:150], v146 offset0:66 offset1:141
	s_waitcnt vmcnt(2) lgkmcnt(0)
	v_mul_f32_e32 v151, v148, v164
	v_mul_f32_e32 v232, v147, v164
	s_waitcnt vmcnt(1)
	v_mul_f32_e32 v164, v149, v166
	v_fma_f32 v231, v147, v163, -v151
	v_mul_f32_e32 v147, v150, v166
	v_fmac_f32_e32 v232, v148, v163
	v_fmac_f32_e32 v164, v150, v165
	v_fma_f32 v163, v149, v165, -v147
	ds_read2_b64 v[147:150], v143 offset0:88 offset1:163
	s_waitcnt vmcnt(0) lgkmcnt(0)
	v_mul_f32_e32 v151, v148, v228
	v_mul_f32_e32 v166, v147, v228
	v_fma_f32 v165, v147, v227, -v151
	v_fmac_f32_e32 v166, v148, v227
	s_clause 0x1
	global_load_dwordx2 v[147:148], v[225:226], off offset:912
	global_load_dwordx2 v[225:226], v[225:226], off offset:1512
	v_add_co_u32 v151, s1, 0x3800, v174
	v_add_co_ci_u32_e64 v152, s1, 0, v175, s1
	s_clause 0x1
	global_load_dwordx2 v[227:228], v[151:152], off offset:64
	global_load_dwordx2 v[233:234], v[151:152], off offset:664
	v_add_nc_u32_e32 v152, 0x1400, v209
	s_waitcnt vmcnt(3)
	v_mul_f32_e32 v151, v150, v148
	v_mul_f32_e32 v236, v149, v148
	v_fma_f32 v235, v149, v147, -v151
	v_fmac_f32_e32 v236, v150, v147
	ds_read2_b64 v[147:150], v152 offset0:110 offset1:185
	s_waitcnt vmcnt(2) lgkmcnt(0)
	v_mul_f32_e32 v151, v148, v226
	v_mul_f32_e32 v238, v147, v226
	v_fma_f32 v237, v147, v225, -v151
	v_fmac_f32_e32 v238, v148, v225
	s_waitcnt vmcnt(1)
	v_mul_f32_e32 v147, v150, v228
	v_mul_f32_e32 v148, v149, v228
	v_fma_f32 v147, v149, v227, -v147
	v_fmac_f32_e32 v148, v150, v227
	ds_read_b64 v[149:150], v209 offset:7200
	s_waitcnt vmcnt(0) lgkmcnt(0)
	v_mul_f32_e32 v151, v150, v234
	v_mul_f32_e32 v226, v149, v234
	v_fma_f32 v225, v149, v233, -v151
	v_fmac_f32_e32 v226, v150, v233
	ds_write2_b64 v209, v[153:154], v[159:160] offset1:75
	ds_write2_b64 v209, v[161:162], v[155:156] offset0:150 offset1:225
	ds_write2_b64 v142, v[157:158], v[229:230] offset0:44 offset1:119
	;; [unrolled: 1-line block ×5, first 2 shown]
	ds_write_b64 v209, v[225:226] offset:7200
	s_and_saveexec_b32 s2, vcc_lo
	s_cbranch_execz .LBB0_13
; %bb.12:
	v_add_co_u32 v147, s1, 0x800, v122
	v_add_co_ci_u32_e64 v148, s1, 0, v123, s1
	s_clause 0x1
	global_load_dwordx2 v[165:166], v[122:123], off offset:312
	global_load_dwordx2 v[233:234], v[122:123], off offset:912
	v_add_co_u32 v149, s1, 0x1000, v122
	s_clause 0x1
	global_load_dwordx2 v[235:236], v[122:123], off offset:1512
	global_load_dwordx2 v[237:238], v[147:148], off offset:64
	v_add_co_ci_u32_e64 v150, s1, 0, v123, s1
	v_add_co_u32 v122, s1, 0x1800, v122
	s_clause 0x3
	global_load_dwordx2 v[239:240], v[147:148], off offset:664
	global_load_dwordx2 v[241:242], v[147:148], off offset:1264
	;; [unrolled: 1-line block ×4, first 2 shown]
	v_add_co_ci_u32_e64 v123, s1, 0, v123, s1
	s_clause 0x4
	global_load_dwordx2 v[247:248], v[149:150], off offset:1016
	global_load_dwordx2 v[249:250], v[149:150], off offset:1616
	global_load_dwordx2 v[251:252], v[122:123], off offset:168
	global_load_dwordx2 v[253:254], v[122:123], off offset:768
	global_load_dwordx2 v[122:123], v[122:123], off offset:1368
	ds_read2_b64 v[147:150], v209 offset0:39 offset1:114
	ds_read2_b64 v[153:156], v145 offset0:61 offset1:136
	;; [unrolled: 1-line block ×6, first 2 shown]
	ds_read_b64 v[217:218], v209 offset:7512
	s_waitcnt vmcnt(12) lgkmcnt(6)
	v_mul_f32_e32 v167, v147, v166
	v_mul_f32_e32 v211, v148, v166
	s_waitcnt vmcnt(11)
	v_mul_f32_e32 v219, v150, v234
	v_mul_f32_e32 v220, v149, v234
	s_waitcnt vmcnt(10) lgkmcnt(5)
	v_mul_f32_e32 v234, v154, v236
	v_mul_f32_e32 v151, v153, v236
	v_fmac_f32_e32 v167, v148, v165
	s_waitcnt vmcnt(9)
	v_mul_f32_e32 v148, v155, v238
	v_fma_f32 v166, v147, v165, -v211
	v_mul_f32_e32 v147, v156, v238
	v_fma_f32 v219, v149, v233, -v219
	v_fmac_f32_e32 v220, v150, v233
	v_fma_f32 v150, v153, v235, -v234
	v_fmac_f32_e32 v151, v154, v235
	s_waitcnt vmcnt(8) lgkmcnt(4)
	v_mul_f32_e32 v149, v158, v240
	v_mul_f32_e32 v154, v157, v240
	s_waitcnt vmcnt(7)
	v_mul_f32_e32 v211, v160, v242
	v_mul_f32_e32 v234, v159, v242
	s_waitcnt vmcnt(6) lgkmcnt(3)
	v_mul_f32_e32 v235, v162, v244
	v_mul_f32_e32 v236, v161, v244
	s_waitcnt vmcnt(5)
	v_mul_f32_e32 v188, v164, v246
	v_mul_f32_e32 v238, v163, v246
	;; [unrolled: 6-line block ×3, first 2 shown]
	s_waitcnt vmcnt(2) lgkmcnt(1)
	v_mul_f32_e32 v250, v230, v252
	v_fmac_f32_e32 v148, v156, v237
	v_mul_f32_e32 v156, v229, v252
	s_waitcnt vmcnt(1)
	v_mul_f32_e32 v252, v232, v254
	v_mul_f32_e32 v242, v231, v254
	v_fma_f32 v147, v155, v237, -v147
	s_waitcnt vmcnt(0) lgkmcnt(0)
	v_mul_f32_e32 v254, v218, v123
	v_mul_f32_e32 v244, v217, v123
	v_fma_f32 v153, v157, v239, -v149
	v_fmac_f32_e32 v154, v158, v239
	v_fma_f32 v233, v159, v241, -v211
	v_fmac_f32_e32 v234, v160, v241
	;; [unrolled: 2-line block ×8, first 2 shown]
	ds_write2_b64 v209, v[166:167], v[219:220] offset0:39 offset1:114
	v_fma_f32 v243, v217, v122, -v254
	v_fmac_f32_e32 v244, v218, v122
	ds_write2_b64 v145, v[150:151], v[147:148] offset0:61 offset1:136
	ds_write2_b64 v142, v[153:154], v[233:234] offset0:83 offset1:158
	;; [unrolled: 1-line block ×5, first 2 shown]
	ds_write_b64 v209, v[243:244] offset:7512
.LBB0_13:
	s_or_b32 exec_lo, exec_lo, s2
	s_waitcnt lgkmcnt(0)
	s_barrier
	buffer_gl0_inv
	ds_read2_b64 v[148:151], v209 offset1:75
	ds_read2_b64 v[160:163], v209 offset0:150 offset1:225
	ds_read2_b64 v[164:167], v142 offset0:44 offset1:119
	;; [unrolled: 1-line block ×5, first 2 shown]
	ds_read_b64 v[122:123], v209 offset:7200
	s_and_saveexec_b32 s1, vcc_lo
	s_cbranch_execz .LBB0_15
; %bb.14:
	v_lshl_add_u32 v116, v187, 3, v210
	v_add_nc_u32_e32 v117, 0x1400, v116
	v_add_nc_u32_e32 v118, 0x800, v116
	;; [unrolled: 1-line block ×3, first 2 shown]
	ds_read2_b64 v[140:143], v117 offset0:74 offset1:149
	v_add_nc_u32_e32 v117, 0x1000, v116
	ds_read2_b64 v[124:127], v118 offset0:158 offset1:233
	ds_read_b64 v[207:208], v209 offset:312
	ds_read2_b64 v[132:135], v116 offset0:114 offset1:189
	ds_read2_b64 v[128:131], v118 offset0:8 offset1:83
	;; [unrolled: 1-line block ×4, first 2 shown]
	s_waitcnt lgkmcnt(6)
	v_mov_b32_e32 v120, v142
	v_mov_b32_e32 v121, v143
.LBB0_15:
	s_or_b32 exec_lo, exec_lo, s1
	s_waitcnt lgkmcnt(6)
	v_add_f32_e32 v142, v148, v150
	v_add_f32_e32 v143, v149, v151
	s_waitcnt lgkmcnt(2)
	v_add_f32_e32 v227, v156, v166
	s_waitcnt lgkmcnt(1)
	v_sub_f32_e32 v231, v161, v155
	v_add_f32_e32 v230, v155, v161
	v_add_f32_e32 v188, v142, v160
	;; [unrolled: 1-line block ×5, first 2 shown]
	v_sub_f32_e32 v225, v165, v159
	v_add_f32_e32 v188, v188, v162
	v_add_f32_e32 v211, v143, v163
	v_sub_f32_e32 v143, v164, v158
	v_add_f32_e32 v226, v159, v165
	v_sub_f32_e32 v228, v167, v157
	v_add_f32_e32 v188, v188, v164
	v_add_f32_e32 v211, v211, v165
	v_sub_f32_e32 v164, v166, v156
	v_add_f32_e32 v165, v157, v167
	v_sub_f32_e32 v229, v160, v154
	v_add_f32_e32 v166, v188, v166
	v_add_f32_e32 v188, v211, v167
	;; [unrolled: 1-line block ×4, first 2 shown]
	v_sub_f32_e32 v162, v162, v152
	v_add_f32_e32 v211, v166, v144
	v_add_f32_e32 v188, v188, v145
	v_sub_f32_e32 v166, v163, v153
	s_waitcnt lgkmcnt(0)
	v_add_f32_e32 v217, v122, v150
	v_sub_f32_e32 v150, v150, v122
	v_add_f32_e32 v163, v211, v146
	v_add_f32_e32 v188, v188, v147
	v_sub_f32_e32 v211, v151, v123
	v_add_f32_e32 v151, v123, v151
	v_add_f32_e32 v156, v163, v156
	;; [unrolled: 1-line block ×3, first 2 shown]
	v_mul_f32_e32 v163, 0xbeedf032, v211
	v_mul_f32_e32 v188, 0xbf52af12, v211
	;; [unrolled: 1-line block ×3, first 2 shown]
	v_add_f32_e32 v156, v156, v158
	v_add_f32_e32 v157, v157, v159
	v_mul_f32_e32 v158, 0xbf6f5d39, v211
	v_mul_f32_e32 v159, 0xbf29c268, v211
	v_fmamk_f32 v219, v217, 0x3f62ad3f, v163
	v_add_f32_e32 v152, v156, v152
	v_add_f32_e32 v153, v157, v153
	v_fma_f32 v156, 0x3f62ad3f, v217, -v163
	v_fmamk_f32 v157, v217, 0x3f116cb1, v188
	v_fma_f32 v163, 0x3f116cb1, v217, -v188
	v_add_f32_e32 v188, v152, v154
	v_mul_f32_e32 v152, 0xbe750f2a, v211
	v_fmamk_f32 v154, v217, 0x3df6dbef, v218
	v_fma_f32 v218, 0x3df6dbef, v217, -v218
	v_fmamk_f32 v211, v217, 0xbeb58ec6, v158
	v_fma_f32 v158, 0xbeb58ec6, v217, -v158
	;; [unrolled: 2-line block ×4, first 2 shown]
	v_mul_f32_e32 v152, 0x3f62ad3f, v151
	v_mul_f32_e32 v159, 0x3f116cb1, v151
	;; [unrolled: 1-line block ×4, first 2 shown]
	v_add_f32_e32 v153, v153, v155
	v_fmamk_f32 v155, v150, 0x3eedf032, v152
	v_fmamk_f32 v232, v150, 0x3f52af12, v159
	v_fmac_f32_e32 v159, 0xbf52af12, v150
	v_fmamk_f32 v238, v150, 0x3f7e222b, v237
	v_fmac_f32_e32 v237, 0xbf7e222b, v150
	v_mul_f32_e32 v240, 0xbf3f9e67, v151
	v_mul_f32_e32 v241, 0xbf788fa5, v151
	v_fmamk_f32 v151, v150, 0x3f6f5d39, v239
	v_add_f32_e32 v219, v148, v219
	v_add_f32_e32 v244, v149, v155
	;; [unrolled: 1-line block ×20, first 2 shown]
	v_sub_f32_e32 v123, v144, v146
	v_mul_f32_e32 v144, 0xbf52af12, v231
	v_mul_f32_e32 v188, 0x3f116cb1, v230
	v_sub_f32_e32 v157, v145, v147
	v_add_f32_e32 v145, v147, v145
	v_mul_f32_e32 v235, 0x3df6dbef, v161
	v_fmamk_f32 v146, v167, 0x3f116cb1, v144
	v_fmamk_f32 v147, v229, 0x3f52af12, v188
	;; [unrolled: 1-line block ×3, first 2 shown]
	v_fmac_f32_e32 v240, 0xbf29c268, v150
	v_mul_f32_e32 v236, 0xbf6f5d39, v225
	v_add_f32_e32 v146, v146, v219
	v_mul_f32_e32 v219, 0xbf7e222b, v166
	v_add_f32_e32 v147, v147, v244
	v_fmac_f32_e32 v152, 0xbeedf032, v150
	v_fmac_f32_e32 v239, 0xbf6f5d39, v150
	v_fmamk_f32 v243, v150, 0x3e750f2a, v241
	v_fmamk_f32 v153, v160, 0x3df6dbef, v219
	v_fmac_f32_e32 v241, 0xbe750f2a, v150
	v_add_f32_e32 v154, v149, v240
	v_mul_f32_e32 v240, 0xbeb58ec6, v226
	v_add_f32_e32 v152, v149, v152
	v_add_f32_e32 v146, v153, v146
	v_fmamk_f32 v153, v162, 0x3f7e222b, v235
	v_add_f32_e32 v238, v149, v238
	v_add_f32_e32 v158, v149, v239
	;; [unrolled: 1-line block ×5, first 2 shown]
	v_fmamk_f32 v153, v142, 0xbeb58ec6, v236
	v_add_f32_e32 v149, v149, v241
	v_mul_f32_e32 v241, 0xbf29c268, v228
	v_mul_f32_e32 v242, 0xbf3f9e67, v165
	;; [unrolled: 1-line block ×3, first 2 shown]
	v_add_f32_e32 v146, v153, v146
	v_fmamk_f32 v153, v143, 0x3f6f5d39, v240
	s_barrier
	buffer_gl0_inv
	v_mul_f32_e32 v248, 0xbf788fa5, v161
	v_mul_f32_e32 v249, 0x3f29c268, v225
	v_add_f32_e32 v147, v153, v147
	v_fmamk_f32 v153, v227, 0xbf3f9e67, v241
	v_mul_f32_e32 v250, 0xbf3f9e67, v226
	v_mul_f32_e32 v251, 0x3f7e222b, v228
	v_mul_f32_e32 v252, 0x3df6dbef, v165
	v_mul_f32_e32 v253, 0x3eedf032, v157
	v_add_f32_e32 v146, v153, v146
	v_fmamk_f32 v153, v164, 0x3f29c268, v242
	v_mul_f32_e32 v254, 0x3f62ad3f, v145
	v_mul_f32_e32 v255, 0xbe750f2a, v231
	;; [unrolled: 6-line block ×3, first 2 shown]
	v_mul_f32_e32 v169, 0xbf3f9e67, v230
	v_mul_f32_e32 v176, 0xbf7e222b, v225
	v_add_f32_e32 v146, v153, v146
	v_mul_f32_e32 v153, 0xbf788fa5, v145
	v_mul_f32_e32 v178, 0x3e750f2a, v228
	;; [unrolled: 1-line block ×3, first 2 shown]
	v_fmamk_f32 v177, v142, 0x3df6dbef, v176
	v_mul_f32_e32 v183, 0x3f7e222b, v231
	v_fmamk_f32 v244, v123, 0x3e750f2a, v153
	v_fmamk_f32 v179, v227, 0xbf788fa5, v178
	;; [unrolled: 1-line block ×3, first 2 shown]
	v_mul_f32_e32 v189, 0x3e750f2a, v225
	v_fmamk_f32 v184, v167, 0x3df6dbef, v183
	v_add_f32_e32 v147, v244, v147
	v_mul_f32_e32 v244, 0xbf6f5d39, v231
	v_mul_f32_e32 v185, 0x3f116cb1, v161
	v_fmamk_f32 v190, v142, 0xbf788fa5, v189
	v_add_f32_e32 v184, v184, v220
	ds_write2_b64 v223, v[217:218], v[146:147] offset1:1
	v_fmamk_f32 v146, v167, 0xbeb58ec6, v244
	v_mul_f32_e32 v220, 0x3df6dbef, v230
	v_mul_f32_e32 v191, 0x3eedf032, v228
	v_fmamk_f32 v186, v162, 0x3f52af12, v185
	v_mul_f32_e32 v193, 0xbf6f5d39, v157
	v_add_f32_e32 v146, v146, v245
	v_mul_f32_e32 v245, 0xbeb58ec6, v230
	v_fmamk_f32 v192, v227, 0x3f62ad3f, v191
	v_fmac_f32_e32 v188, 0xbf52af12, v229
	v_fmamk_f32 v194, v122, 0xbeb58ec6, v193
	v_fma_f32 v144, 0x3f116cb1, v167, -v144
	v_fmamk_f32 v147, v229, 0x3f6f5d39, v245
	v_fmac_f32_e32 v235, 0xbf7e222b, v162
	v_add_f32_e32 v152, v188, v152
	v_fmac_f32_e32 v240, 0xbf6f5d39, v143
	v_add_f32_e32 v144, v144, v155
	v_add_f32_e32 v147, v147, v246
	v_mul_f32_e32 v246, 0xbe750f2a, v166
	v_fma_f32 v155, 0x3df6dbef, v160, -v219
	v_add_f32_e32 v152, v235, v152
	v_fmac_f32_e32 v242, 0xbf29c268, v164
	v_fmac_f32_e32 v185, 0xbf52af12, v162
	v_fmamk_f32 v217, v160, 0xbf788fa5, v246
	v_add_f32_e32 v144, v155, v144
	v_fma_f32 v155, 0xbeb58ec6, v142, -v236
	v_add_f32_e32 v152, v240, v152
	v_fmac_f32_e32 v245, 0xbf6f5d39, v229
	v_add_f32_e32 v146, v217, v146
	v_fmamk_f32 v217, v162, 0x3e750f2a, v248
	v_add_f32_e32 v144, v155, v144
	v_fma_f32 v155, 0xbf3f9e67, v227, -v241
	v_fmac_f32_e32 v248, 0xbe750f2a, v162
	v_fmac_f32_e32 v153, 0xbe750f2a, v123
	v_add_f32_e32 v147, v217, v147
	v_fmamk_f32 v217, v142, 0xbf3f9e67, v249
	v_add_f32_e32 v144, v155, v144
	v_add_f32_e32 v146, v217, v146
	v_fmamk_f32 v217, v143, 0xbf29c268, v250
	v_fmac_f32_e32 v250, 0x3f29c268, v143
	v_add_f32_e32 v147, v217, v147
	v_fmamk_f32 v217, v227, 0x3df6dbef, v251
	v_add_f32_e32 v146, v217, v146
	v_fmamk_f32 v217, v164, 0xbf7e222b, v252
	v_fmac_f32_e32 v252, 0x3f7e222b, v164
	v_add_f32_e32 v147, v217, v147
	v_fmamk_f32 v217, v122, 0x3f62ad3f, v253
	;; [unrolled: 5-line block ×3, first 2 shown]
	v_add_f32_e32 v217, v217, v247
	v_mul_f32_e32 v247, 0xbf788fa5, v230
	v_fmamk_f32 v218, v229, 0x3e750f2a, v247
	v_fmac_f32_e32 v247, 0xbe750f2a, v229
	v_add_f32_e32 v218, v218, v238
	v_mul_f32_e32 v238, 0x3f6f5d39, v166
	v_add_f32_e32 v163, v247, v163
	v_fmamk_f32 v221, v160, 0xbeb58ec6, v238
	v_add_f32_e32 v217, v221, v217
	v_mul_f32_e32 v221, 0xbeb58ec6, v161
	v_fmamk_f32 v222, v162, 0xbf6f5d39, v221
	v_fmac_f32_e32 v221, 0x3f6f5d39, v162
	v_add_f32_e32 v218, v222, v218
	v_mul_f32_e32 v222, 0x3eedf032, v225
	v_add_f32_e32 v163, v221, v163
	v_fmamk_f32 v212, v142, 0x3f62ad3f, v222
	v_add_f32_e32 v212, v212, v217
	v_fmamk_f32 v217, v143, 0xbeedf032, v213
	v_fmac_f32_e32 v213, 0x3eedf032, v143
	v_add_f32_e32 v217, v217, v218
	v_fmamk_f32 v218, v227, 0x3f116cb1, v214
	v_add_f32_e32 v163, v213, v163
	v_add_f32_e32 v212, v218, v212
	v_fmamk_f32 v218, v164, 0x3f52af12, v215
	v_fmac_f32_e32 v215, 0xbf52af12, v164
	v_add_f32_e32 v218, v218, v217
	v_fmamk_f32 v217, v122, 0xbf3f9e67, v216
	v_add_f32_e32 v163, v215, v163
	v_add_f32_e32 v217, v217, v212
	v_mul_f32_e32 v212, 0xbf3f9e67, v145
	v_fmamk_f32 v168, v123, 0x3f29c268, v212
	v_fmac_f32_e32 v212, 0xbf29c268, v123
	v_add_f32_e32 v218, v168, v218
	v_mul_f32_e32 v168, 0x3f29c268, v231
	ds_write2_b64 v223, v[146:147], v[217:218] offset0:2 offset1:3
	v_fmamk_f32 v146, v167, 0xbf3f9e67, v168
	v_fmamk_f32 v147, v229, 0xbf29c268, v169
	v_fmac_f32_e32 v169, 0x3f29c268, v229
	v_add_f32_e32 v146, v146, v211
	v_mul_f32_e32 v211, 0x3eedf032, v166
	v_add_f32_e32 v147, v147, v237
	v_mul_f32_e32 v237, 0x3f62ad3f, v161
	v_add_f32_e32 v158, v169, v158
	v_fmamk_f32 v217, v160, 0x3f62ad3f, v211
	v_add_f32_e32 v146, v217, v146
	v_fmamk_f32 v217, v162, 0xbeedf032, v237
	v_fmac_f32_e32 v237, 0x3eedf032, v162
	v_add_f32_e32 v146, v177, v146
	v_mul_f32_e32 v177, 0x3df6dbef, v226
	v_add_f32_e32 v147, v217, v147
	v_add_f32_e32 v158, v237, v158
	;; [unrolled: 1-line block ×3, first 2 shown]
	v_fmamk_f32 v217, v143, 0x3f7e222b, v177
	v_mul_f32_e32 v179, 0xbf788fa5, v165
	v_fmac_f32_e32 v177, 0xbf7e222b, v143
	v_add_f32_e32 v146, v181, v146
	v_add_f32_e32 v147, v217, v147
	v_fmamk_f32 v217, v164, 0xbe750f2a, v179
	v_mul_f32_e32 v181, 0x3f116cb1, v145
	v_add_f32_e32 v158, v177, v158
	v_fmac_f32_e32 v179, 0x3e750f2a, v164
	v_add_f32_e32 v147, v217, v147
	v_fmamk_f32 v217, v123, 0xbf52af12, v181
	v_fmac_f32_e32 v181, 0x3f52af12, v123
	v_add_f32_e32 v147, v217, v147
	v_fmamk_f32 v217, v229, 0xbf7e222b, v220
	v_fmac_f32_e32 v220, 0x3f7e222b, v229
	v_add_f32_e32 v217, v217, v239
	v_mul_f32_e32 v239, 0xbf52af12, v166
	v_add_f32_e32 v154, v220, v154
	v_add_f32_e32 v186, v186, v217
	v_fmamk_f32 v218, v160, 0x3f116cb1, v239
	v_fma_f32 v155, 0x3f116cb1, v160, -v239
	v_add_f32_e32 v154, v185, v154
	v_add_f32_e32 v184, v218, v184
	;; [unrolled: 1-line block ×3, first 2 shown]
	v_mul_f32_e32 v190, 0xbf788fa5, v226
	v_add_f32_e32 v184, v192, v184
	v_fmamk_f32 v217, v143, 0xbe750f2a, v190
	v_mul_f32_e32 v192, 0x3f62ad3f, v165
	v_fmac_f32_e32 v190, 0x3e750f2a, v143
	v_add_f32_e32 v186, v217, v186
	v_fmamk_f32 v217, v164, 0xbeedf032, v192
	v_fmac_f32_e32 v192, 0x3eedf032, v164
	v_add_f32_e32 v186, v217, v186
	v_add_f32_e32 v217, v194, v184
	v_mul_f32_e32 v184, 0xbeb58ec6, v145
	v_mul_f32_e32 v145, 0x3df6dbef, v145
	v_fmamk_f32 v194, v123, 0x3f6f5d39, v184
	v_fmac_f32_e32 v184, 0xbf6f5d39, v123
	v_add_f32_e32 v218, v194, v186
	v_fma_f32 v186, 0xbf788fa5, v160, -v246
	v_fma_f32 v194, 0xbeb58ec6, v160, -v238
	ds_write2_b64 v223, v[146:147], v[217:218] offset0:4 offset1:5
	v_add_f32_e32 v218, v212, v163
	v_fma_f32 v163, 0xbf3f9e67, v167, -v168
	v_add_f32_e32 v168, v242, v152
	v_fma_f32 v152, 0x3df6dbef, v167, -v183
	v_fma_f32 v146, 0xbeb58ec6, v167, -v244
	v_add_f32_e32 v147, v245, v233
	v_add_f32_e32 v159, v163, v159
	v_fma_f32 v163, 0x3f62ad3f, v160, -v211
	v_add_f32_e32 v152, v152, v156
	v_add_f32_e32 v146, v146, v234
	v_fma_f32 v156, 0x3f62ad3f, v227, -v191
	v_add_f32_e32 v147, v248, v147
	v_add_f32_e32 v159, v163, v159
	v_add_f32_e32 v152, v155, v152
	v_fma_f32 v155, 0xbf788fa5, v142, -v189
	v_fma_f32 v163, 0x3df6dbef, v142, -v176
	v_add_f32_e32 v146, v186, v146
	v_fma_f32 v186, 0xbf3f9e67, v142, -v249
	v_add_f32_e32 v147, v250, v147
	v_add_f32_e32 v152, v155, v152
	v_fma_f32 v155, 0xbf788fa5, v122, -v243
	v_add_f32_e32 v159, v163, v159
	v_fma_f32 v163, 0xbf788fa5, v227, -v178
	v_add_f32_e32 v146, v186, v146
	v_fma_f32 v186, 0x3df6dbef, v227, -v251
	v_add_f32_e32 v219, v155, v144
	v_add_f32_e32 v144, v190, v154
	v_mul_f32_e32 v154, 0x3eedf032, v231
	v_add_f32_e32 v159, v163, v159
	v_add_f32_e32 v163, v179, v158
	v_fma_f32 v158, 0x3f116cb1, v122, -v180
	v_add_f32_e32 v152, v156, v152
	v_fma_f32 v155, 0xbeb58ec6, v122, -v193
	v_mul_f32_e32 v156, 0x3f62ad3f, v230
	v_add_f32_e32 v169, v192, v144
	v_fmamk_f32 v144, v167, 0x3f62ad3f, v154
	v_add_f32_e32 v146, v186, v146
	v_fma_f32 v186, 0x3f62ad3f, v122, -v253
	v_add_f32_e32 v158, v158, v159
	v_add_f32_e32 v159, v181, v163
	;; [unrolled: 1-line block ×3, first 2 shown]
	v_fmamk_f32 v152, v229, 0xbeedf032, v156
	v_fma_f32 v154, 0x3f62ad3f, v167, -v154
	v_fmac_f32_e32 v156, 0x3eedf032, v229
	v_add_f32_e32 v144, v144, v151
	v_mul_f32_e32 v151, 0xbf29c268, v166
	v_add_f32_e32 v146, v186, v146
	v_fma_f32 v186, 0xbf788fa5, v167, -v255
	v_add_f32_e32 v150, v152, v150
	v_mul_f32_e32 v152, 0xbf3f9e67, v161
	v_add_f32_e32 v148, v154, v148
	v_add_f32_e32 v149, v156, v149
	v_fmamk_f32 v154, v160, 0xbf3f9e67, v151
	v_fma_f32 v151, 0xbf3f9e67, v160, -v151
	v_mul_f32_e32 v156, 0x3f52af12, v225
	v_add_f32_e32 v186, v186, v232
	v_fmamk_f32 v155, v162, 0x3f29c268, v152
	v_fmac_f32_e32 v152, 0xbf29c268, v162
	v_add_f32_e32 v144, v154, v144
	v_mul_f32_e32 v154, 0x3f116cb1, v226
	v_add_f32_e32 v148, v151, v148
	v_fmamk_f32 v151, v142, 0x3f116cb1, v156
	v_add_f32_e32 v186, v194, v186
	v_fma_f32 v194, 0x3f62ad3f, v142, -v222
	v_add_f32_e32 v150, v155, v150
	v_add_f32_e32 v149, v152, v149
	v_fmamk_f32 v152, v143, 0xbf52af12, v154
	v_fma_f32 v142, 0x3f116cb1, v142, -v156
	v_fmac_f32_e32 v154, 0x3f52af12, v143
	v_add_f32_e32 v143, v151, v144
	v_mul_f32_e32 v144, 0xbf6f5d39, v228
	v_mul_f32_e32 v151, 0xbeb58ec6, v165
	v_add_f32_e32 v186, v194, v186
	v_fma_f32 v194, 0x3f116cb1, v227, -v214
	v_add_f32_e32 v150, v152, v150
	v_add_f32_e32 v142, v142, v148
	v_add_f32_e32 v148, v154, v149
	v_fmamk_f32 v149, v227, 0xbeb58ec6, v144
	v_fma_f32 v144, 0xbeb58ec6, v227, -v144
	v_fmamk_f32 v152, v164, 0x3f6f5d39, v151
	v_fmac_f32_e32 v151, 0xbf6f5d39, v164
	v_mul_f32_e32 v154, 0x3f7e222b, v157
	v_add_f32_e32 v186, v194, v186
	v_fma_f32 v194, 0xbf3f9e67, v122, -v216
	v_add_f32_e32 v143, v149, v143
	v_add_f32_e32 v149, v152, v150
	;; [unrolled: 1-line block ×3, first 2 shown]
	v_fmamk_f32 v142, v122, 0x3df6dbef, v154
	v_fmamk_f32 v150, v123, 0xbf7e222b, v145
	v_add_f32_e32 v148, v151, v148
	v_fma_f32 v122, 0x3df6dbef, v122, -v154
	v_fmac_f32_e32 v145, 0x3f7e222b, v123
	v_sub_f32_e32 v157, v133, v119
	v_add_f32_e32 v147, v252, v147
	v_add_f32_e32 v142, v142, v143
	;; [unrolled: 1-line block ×7, first 2 shown]
	v_mul_f32_e32 v154, 0xbeedf032, v157
	v_add_f32_e32 v164, v184, v169
	v_sub_f32_e32 v160, v135, v117
	v_add_f32_e32 v147, v254, v147
	v_add_f32_e32 v217, v194, v186
	ds_write2_b64 v223, v[142:143], v[144:145] offset0:6 offset1:7
	v_sub_f32_e32 v145, v132, v118
	v_mul_f32_e32 v155, 0x3f62ad3f, v161
	v_fma_f32 v142, 0x3f62ad3f, v122, -v154
	ds_write2_b64 v223, v[163:164], v[158:159] offset0:8 offset1:9
	v_add_f32_e32 v166, v117, v135
	v_add_f32_e32 v123, v116, v134
	v_mul_f32_e32 v156, 0xbf52af12, v160
	v_sub_f32_e32 v164, v129, v121
	v_fmamk_f32 v143, v145, 0xbeedf032, v155
	v_sub_f32_e32 v144, v134, v116
	ds_write2_b64 v223, v[217:218], v[146:147] offset0:10 offset1:11
	v_mul_f32_e32 v159, 0x3f116cb1, v166
	v_add_f32_e32 v142, v207, v142
	v_fma_f32 v147, 0x3f116cb1, v123, -v156
	v_add_f32_e32 v146, v120, v128
	v_mul_f32_e32 v158, 0xbf7e222b, v164
	v_add_f32_e32 v229, v121, v129
	v_add_f32_e32 v143, v208, v143
	v_fmamk_f32 v148, v144, 0xbf52af12, v159
	v_add_f32_e32 v142, v147, v142
	v_fma_f32 v149, 0x3df6dbef, v146, -v158
	v_sub_f32_e32 v147, v128, v120
	v_mul_f32_e32 v163, 0x3df6dbef, v229
	v_sub_f32_e32 v227, v131, v141
	v_add_f32_e32 v231, v141, v131
	v_add_f32_e32 v143, v148, v143
	;; [unrolled: 1-line block ×3, first 2 shown]
	v_fmamk_f32 v150, v147, 0xbf7e222b, v163
	v_add_f32_e32 v148, v140, v130
	v_mul_f32_e32 v162, 0xbf6f5d39, v227
	v_sub_f32_e32 v149, v130, v140
	v_mul_f32_e32 v167, 0xbeb58ec6, v231
	v_sub_f32_e32 v230, v125, v139
	v_add_f32_e32 v143, v150, v143
	v_fma_f32 v152, 0xbeb58ec6, v148, -v162
	v_add_f32_e32 v233, v139, v125
	v_fmamk_f32 v169, v149, 0xbf6f5d39, v167
	v_add_f32_e32 v150, v138, v124
	v_mul_f32_e32 v165, 0xbf29c268, v230
	v_sub_f32_e32 v232, v127, v137
	v_sub_f32_e32 v151, v124, v138
	v_mul_f32_e32 v226, 0xbf3f9e67, v233
	v_add_f32_e32 v142, v152, v142
	v_add_f32_e32 v143, v169, v143
	v_fma_f32 v169, 0xbf3f9e67, v150, -v165
	v_add_f32_e32 v152, v136, v126
	v_mul_f32_e32 v225, 0xbe750f2a, v232
	v_add_f32_e32 v234, v137, v127
	v_fmamk_f32 v176, v151, 0xbf29c268, v226
	v_add_f32_e32 v220, v153, v168
	v_add_f32_e32 v142, v169, v142
	v_fma_f32 v168, 0xbf788fa5, v152, -v225
	v_sub_f32_e32 v153, v126, v136
	v_mul_f32_e32 v228, 0xbf788fa5, v234
	v_add_f32_e32 v143, v176, v143
	ds_write_b64 v223, v[219:220] offset:96
	v_add_f32_e32 v142, v168, v142
	v_fmamk_f32 v168, v153, 0xbe750f2a, v228
	v_add_f32_e32 v143, v168, v143
	s_and_saveexec_b32 s1, vcc_lo
	s_cbranch_execz .LBB0_17
; %bb.16:
	v_add_f32_e32 v133, v133, v208
	v_add_f32_e32 v132, v132, v207
	v_mul_f32_e32 v168, 0x3f116cb1, v231
	v_mul_f32_e32 v169, 0xbe750f2a, v157
	;; [unrolled: 1-line block ×3, first 2 shown]
	v_add_f32_e32 v133, v135, v133
	v_add_f32_e32 v132, v134, v132
	v_mul_f32_e32 v134, 0xbf788fa5, v161
	v_mul_f32_e32 v178, 0xbf29c268, v157
	;; [unrolled: 1-line block ×3, first 2 shown]
	v_add_f32_e32 v129, v129, v133
	v_add_f32_e32 v128, v128, v132
	v_mul_f32_e32 v132, 0x3f62ad3f, v166
	v_fmamk_f32 v135, v145, 0x3e750f2a, v134
	v_mul_f32_e32 v133, 0xbf3f9e67, v229
	v_add_f32_e32 v129, v131, v129
	v_add_f32_e32 v128, v130, v128
	v_fmamk_f32 v130, v144, 0xbeedf032, v132
	v_add_f32_e32 v131, v208, v135
	v_mul_f32_e32 v135, 0x3eedf032, v160
	v_add_f32_e32 v125, v125, v129
	v_add_f32_e32 v124, v124, v128
	v_fmamk_f32 v128, v147, 0x3f29c268, v133
	v_add_f32_e32 v129, v130, v131
	v_fmamk_f32 v130, v149, 0xbf52af12, v168
	v_add_f32_e32 v125, v127, v125
	v_add_f32_e32 v124, v126, v124
	v_fmamk_f32 v127, v122, 0xbf788fa5, v169
	v_add_f32_e32 v126, v128, v129
	v_fmamk_f32 v128, v151, 0x3f6f5d39, v176
	v_add_f32_e32 v125, v137, v125
	v_add_f32_e32 v124, v136, v124
	v_mul_f32_e32 v137, 0xbf3f9e67, v161
	v_add_f32_e32 v126, v130, v126
	v_fmamk_f32 v129, v123, 0x3f62ad3f, v135
	v_add_f32_e32 v125, v139, v125
	v_add_f32_e32 v124, v138, v124
	v_fmamk_f32 v130, v145, 0x3f29c268, v137
	v_mul_f32_e32 v139, 0x3df6dbef, v166
	v_add_f32_e32 v127, v207, v127
	v_add_f32_e32 v125, v141, v125
	;; [unrolled: 1-line block ×3, first 2 shown]
	v_mul_f32_e32 v141, 0x3f116cb1, v229
	v_mul_f32_e32 v179, 0x3f7e222b, v160
	v_add_f32_e32 v126, v128, v126
	v_add_f32_e32 v121, v121, v125
	;; [unrolled: 1-line block ×4, first 2 shown]
	v_fmamk_f32 v125, v144, 0xbf7e222b, v139
	v_add_f32_e32 v127, v129, v127
	v_add_f32_e32 v117, v117, v121
	v_add_f32_e32 v116, v116, v120
	v_fmamk_f32 v128, v146, 0xbf3f9e67, v177
	v_add_f32_e32 v121, v125, v124
	v_fmamk_f32 v125, v122, 0xbf3f9e67, v178
	v_mul_f32_e32 v138, 0x3f52af12, v227
	v_fmamk_f32 v124, v147, 0x3f52af12, v141
	v_add_f32_e32 v116, v118, v116
	v_mul_f32_e32 v181, 0xbf52af12, v164
	v_add_f32_e32 v118, v207, v125
	v_fmamk_f32 v125, v123, 0x3df6dbef, v179
	v_mul_f32_e32 v136, 0x3df6dbef, v234
	v_add_f32_e32 v127, v128, v127
	v_fmamk_f32 v128, v148, 0x3f116cb1, v138
	v_mul_f32_e32 v140, 0xbf6f5d39, v230
	v_mul_f32_e32 v180, 0xbf788fa5, v231
	v_add_f32_e32 v121, v124, v121
	v_add_f32_e32 v118, v125, v118
	v_fmamk_f32 v124, v146, 0x3f116cb1, v181
	v_mul_f32_e32 v184, 0x3e750f2a, v227
	v_fmamk_f32 v129, v153, 0xbf7e222b, v136
	v_add_f32_e32 v127, v128, v127
	v_fmamk_f32 v120, v150, 0xbeb58ec6, v140
	v_mul_f32_e32 v183, 0x3f7e222b, v232
	v_fmamk_f32 v125, v149, 0xbe750f2a, v180
	v_mul_f32_e32 v185, 0x3f62ad3f, v233
	v_add_f32_e32 v118, v124, v118
	v_fmamk_f32 v124, v148, 0xbf788fa5, v184
	v_mul_f32_e32 v186, 0x3eedf032, v230
	v_add_f32_e32 v117, v119, v117
	v_add_f32_e32 v119, v129, v126
	;; [unrolled: 1-line block ×3, first 2 shown]
	v_fmamk_f32 v126, v152, 0x3df6dbef, v183
	v_add_f32_e32 v121, v125, v121
	v_fmamk_f32 v125, v151, 0xbeedf032, v185
	v_add_f32_e32 v124, v124, v118
	v_fmamk_f32 v127, v150, 0x3f62ad3f, v186
	v_mul_f32_e32 v188, 0xbeb58ec6, v234
	v_mul_f32_e32 v189, 0xbf6f5d39, v232
	v_add_f32_e32 v118, v126, v120
	v_add_f32_e32 v120, v125, v121
	;; [unrolled: 1-line block ×3, first 2 shown]
	v_fmamk_f32 v121, v153, 0x3f6f5d39, v188
	v_fmamk_f32 v125, v152, 0xbeb58ec6, v189
	v_mul_f32_e32 v190, 0xbeb58ec6, v161
	v_mul_f32_e32 v191, 0xbf3f9e67, v166
	;; [unrolled: 1-line block ×3, first 2 shown]
	v_add_f32_e32 v121, v121, v120
	v_add_f32_e32 v120, v125, v124
	v_fmamk_f32 v124, v145, 0x3f6f5d39, v190
	v_fmamk_f32 v125, v144, 0xbf29c268, v191
	v_mul_f32_e32 v193, 0x3df6dbef, v231
	v_mul_f32_e32 v194, 0xbf788fa5, v233
	;; [unrolled: 1-line block ×3, first 2 shown]
	v_add_f32_e32 v124, v208, v124
	v_mul_f32_e32 v212, 0x3f29c268, v160
	v_mul_f32_e32 v213, 0x3eedf032, v164
	;; [unrolled: 1-line block ×4, first 2 shown]
	v_add_f32_e32 v124, v125, v124
	v_fmamk_f32 v125, v147, 0xbeedf032, v192
	v_fmamk_f32 v126, v123, 0xbf3f9e67, v212
	v_mul_f32_e32 v216, 0x3f116cb1, v234
	v_mul_f32_e32 v217, 0x3f52af12, v232
	;; [unrolled: 1-line block ×3, first 2 shown]
	v_add_f32_e32 v124, v125, v124
	v_fmamk_f32 v125, v149, 0x3f7e222b, v193
	v_mul_f32_e32 v219, 0xbf788fa5, v166
	v_mul_f32_e32 v220, 0xbeb58ec6, v229
	;; [unrolled: 1-line block ×4, first 2 shown]
	v_add_f32_e32 v124, v125, v124
	v_fmamk_f32 v125, v151, 0xbe750f2a, v194
	v_fmamk_f32 v127, v144, 0x3e750f2a, v219
	v_mul_f32_e32 v223, 0xbf7e222b, v157
	v_mul_f32_e32 v235, 0xbe750f2a, v160
	v_mul_f32_e32 v236, 0x3f6f5d39, v164
	v_add_f32_e32 v124, v125, v124
	v_fmamk_f32 v125, v122, 0xbeb58ec6, v211
	v_mul_f32_e32 v237, 0x3eedf032, v227
	v_fmamk_f32 v128, v123, 0xbf788fa5, v235
	v_mul_f32_e32 v238, 0xbf52af12, v230
	v_mul_f32_e32 v239, 0xbf3f9e67, v234
	v_add_f32_e32 v125, v207, v125
	v_mul_f32_e32 v240, 0xbf29c268, v232
	v_mul_f32_e32 v161, 0x3f116cb1, v161
	;; [unrolled: 1-line block ×4, first 2 shown]
	v_add_f32_e32 v125, v126, v125
	v_fmamk_f32 v126, v146, 0x3f62ad3f, v213
	v_fmac_f32_e32 v134, 0xbe750f2a, v145
	v_fmamk_f32 v129, v144, 0x3f6f5d39, v166
	v_mul_f32_e32 v231, 0xbf3f9e67, v231
	v_fmac_f32_e32 v132, 0x3eedf032, v144
	v_add_f32_e32 v125, v126, v125
	v_fmamk_f32 v126, v148, 0x3df6dbef, v214
	v_add_f32_e32 v134, v208, v134
	v_mul_f32_e32 v233, 0x3df6dbef, v233
	v_fmac_f32_e32 v133, 0xbf29c268, v147
	v_mul_f32_e32 v157, 0xbf52af12, v157
	v_add_f32_e32 v125, v126, v125
	v_fmamk_f32 v126, v150, 0xbf788fa5, v215
	v_add_f32_e32 v132, v132, v134
	v_mul_f32_e32 v160, 0xbf6f5d39, v160
	v_fma_f32 v134, 0x3f62ad3f, v123, -v135
	v_mul_f32_e32 v164, 0xbe750f2a, v164
	v_add_f32_e32 v126, v126, v125
	v_fmamk_f32 v125, v153, 0xbf52af12, v216
	v_add_f32_e32 v132, v133, v132
	v_fma_f32 v133, 0xbf788fa5, v122, -v169
	v_fmamk_f32 v130, v123, 0xbeb58ec6, v160
	v_mul_f32_e32 v227, 0x3f29c268, v227
	v_add_f32_e32 v125, v125, v124
	v_fmamk_f32 v124, v152, 0x3f116cb1, v217
	v_add_f32_e32 v133, v207, v133
	v_fmac_f32_e32 v168, 0x3f52af12, v149
	v_mul_f32_e32 v230, 0x3f7e222b, v230
	v_fmac_f32_e32 v176, 0xbf6f5d39, v151
	v_add_f32_e32 v124, v124, v126
	v_fmamk_f32 v126, v145, 0x3f7e222b, v218
	v_add_f32_e32 v133, v134, v133
	v_fma_f32 v134, 0xbf3f9e67, v146, -v177
	v_add_f32_e32 v132, v168, v132
	v_mul_f32_e32 v234, 0x3f62ad3f, v234
	v_add_f32_e32 v126, v208, v126
	v_fmac_f32_e32 v136, 0x3f7e222b, v153
	v_add_f32_e32 v133, v134, v133
	v_fma_f32 v134, 0x3f116cb1, v148, -v138
	v_add_f32_e32 v132, v176, v132
	v_add_f32_e32 v126, v127, v126
	v_fmamk_f32 v127, v147, 0xbf6f5d39, v220
	v_fma_f32 v135, 0x3df6dbef, v152, -v183
	v_add_f32_e32 v133, v134, v133
	v_fma_f32 v134, 0xbeb58ec6, v150, -v140
	v_mul_f32_e32 v232, 0x3eedf032, v232
	v_add_f32_e32 v126, v127, v126
	v_fmamk_f32 v127, v149, 0xbeedf032, v221
	v_fmac_f32_e32 v137, 0xbf29c268, v145
	v_add_f32_e32 v134, v134, v133
	v_add_f32_e32 v133, v136, v132
	v_fmac_f32_e32 v139, 0x3f7e222b, v144
	v_add_f32_e32 v126, v127, v126
	v_fmamk_f32 v127, v151, 0x3f52af12, v222
	v_add_f32_e32 v132, v135, v134
	v_fma_f32 v135, 0xbf3f9e67, v122, -v178
	v_add_f32_e32 v134, v208, v137
	v_fma_f32 v136, 0x3df6dbef, v123, -v179
	v_add_f32_e32 v126, v127, v126
	v_fmamk_f32 v127, v122, 0x3df6dbef, v223
	v_add_f32_e32 v135, v207, v135
	v_add_f32_e32 v134, v139, v134
	v_fmac_f32_e32 v141, 0xbf52af12, v147
	v_fmac_f32_e32 v190, 0xbf6f5d39, v145
	v_add_f32_e32 v127, v207, v127
	v_add_f32_e32 v135, v136, v135
	v_fma_f32 v136, 0x3f116cb1, v146, -v181
	v_mul_f32_e32 v131, 0xbf52af12, v144
	v_add_f32_e32 v134, v141, v134
	v_add_f32_e32 v127, v128, v127
	v_fmamk_f32 v128, v146, 0xbeb58ec6, v236
	v_fmac_f32_e32 v180, 0x3e750f2a, v149
	v_add_f32_e32 v135, v136, v135
	v_fma_f32 v136, 0xbeb58ec6, v122, -v211
	v_add_f32_e32 v138, v208, v190
	v_add_f32_e32 v127, v128, v127
	v_fmamk_f32 v128, v148, 0x3f62ad3f, v237
	v_fmac_f32_e32 v191, 0x3f29c268, v144
	v_sub_f32_e32 v131, v159, v131
	v_add_f32_e32 v134, v180, v134
	v_fmac_f32_e32 v185, 0x3eedf032, v151
	v_add_f32_e32 v127, v128, v127
	v_fmamk_f32 v128, v150, 0x3f116cb1, v238
	v_fma_f32 v137, 0xbf788fa5, v148, -v184
	v_add_f32_e32 v136, v207, v136
	v_fma_f32 v139, 0xbf3f9e67, v123, -v212
	v_add_f32_e32 v138, v191, v138
	v_add_f32_e32 v128, v128, v127
	v_fmamk_f32 v127, v153, 0x3f29c268, v239
	v_fmac_f32_e32 v192, 0x3eedf032, v147
	v_add_f32_e32 v134, v185, v134
	v_add_f32_e32 v135, v137, v135
	v_fma_f32 v137, 0x3f62ad3f, v150, -v186
	v_add_f32_e32 v127, v127, v126
	v_fmamk_f32 v126, v152, 0xbf3f9e67, v240
	v_fmac_f32_e32 v218, 0xbf7e222b, v145
	v_add_f32_e32 v136, v139, v136
	v_fma_f32 v139, 0x3f62ad3f, v146, -v213
	v_fmac_f32_e32 v188, 0xbf6f5d39, v153
	v_add_f32_e32 v126, v126, v128
	v_fmamk_f32 v128, v145, 0x3f52af12, v161
	v_add_f32_e32 v138, v192, v138
	v_fmac_f32_e32 v193, 0xbf7e222b, v149
	v_add_f32_e32 v140, v208, v218
	v_fmac_f32_e32 v219, 0xbe750f2a, v144
	v_add_f32_e32 v128, v208, v128
	v_add_f32_e32 v137, v137, v135
	;; [unrolled: 1-line block ×4, first 2 shown]
	v_fma_f32 v134, 0x3df6dbef, v148, -v214
	v_add_f32_e32 v128, v129, v128
	v_fmamk_f32 v129, v147, 0x3e750f2a, v229
	v_add_f32_e32 v138, v193, v138
	v_fmac_f32_e32 v194, 0x3e750f2a, v151
	v_add_f32_e32 v139, v219, v140
	v_fma_f32 v140, 0xbeb58ec6, v152, -v189
	v_add_f32_e32 v128, v129, v128
	v_fmamk_f32 v129, v149, 0xbf29c268, v231
	v_add_f32_e32 v134, v134, v136
	v_fma_f32 v136, 0xbf788fa5, v150, -v215
	v_add_f32_e32 v138, v194, v138
	v_fmac_f32_e32 v216, 0x3f52af12, v153
	v_add_f32_e32 v128, v129, v128
	v_fmamk_f32 v129, v151, 0xbf7e222b, v233
	v_add_f32_e32 v136, v136, v134
	v_add_f32_e32 v134, v140, v137
	;; [unrolled: 1-line block ×3, first 2 shown]
	v_fma_f32 v138, 0x3df6dbef, v122, -v223
	v_add_f32_e32 v128, v129, v128
	v_fmamk_f32 v129, v122, 0x3f116cb1, v157
	v_fma_f32 v140, 0xbf788fa5, v123, -v235
	v_fmac_f32_e32 v166, 0xbf6f5d39, v144
	v_fma_f32 v141, 0x3f116cb1, v152, -v217
	v_fmac_f32_e32 v161, 0xbf52af12, v145
	v_add_f32_e32 v129, v207, v129
	v_add_f32_e32 v138, v207, v138
	v_fmac_f32_e32 v220, 0x3f6f5d39, v147
	v_add_f32_e32 v136, v141, v136
	v_add_f32_e32 v141, v208, v161
	;; [unrolled: 1-line block ×3, first 2 shown]
	v_fmamk_f32 v130, v146, 0xbf788fa5, v164
	v_add_f32_e32 v138, v140, v138
	v_fma_f32 v140, 0xbeb58ec6, v146, -v236
	v_add_f32_e32 v141, v166, v141
	v_fmac_f32_e32 v229, 0xbe750f2a, v147
	v_add_f32_e32 v129, v130, v129
	v_fmamk_f32 v130, v148, 0xbf3f9e67, v227
	v_add_f32_e32 v139, v220, v139
	v_fmac_f32_e32 v221, 0x3eedf032, v149
	v_add_f32_e32 v138, v140, v138
	v_fma_f32 v140, 0x3f62ad3f, v148, -v237
	v_add_f32_e32 v129, v130, v129
	v_fmamk_f32 v130, v150, 0x3df6dbef, v230
	v_add_f32_e32 v141, v229, v141
	v_fmac_f32_e32 v231, 0x3f29c268, v149
	v_add_f32_e32 v139, v221, v139
	v_fmac_f32_e32 v222, 0xbf52af12, v151
	v_add_f32_e32 v130, v130, v129
	v_fmamk_f32 v129, v153, 0xbeedf032, v234
	v_add_f32_e32 v138, v140, v138
	v_fma_f32 v140, 0x3f116cb1, v150, -v238
	v_add_f32_e32 v141, v231, v141
	v_fmac_f32_e32 v233, 0x3f7e222b, v151
	v_add_f32_e32 v129, v129, v128
	v_fmamk_f32 v128, v152, 0x3f62ad3f, v232
	v_add_f32_e32 v139, v222, v139
	v_fmac_f32_e32 v239, 0xbf29c268, v153
	v_add_f32_e32 v138, v140, v138
	v_fma_f32 v140, 0xbf3f9e67, v152, -v240
	v_add_f32_e32 v128, v128, v130
	v_mul_f32_e32 v130, 0xbeedf032, v145
	v_add_f32_e32 v141, v233, v141
	v_fmac_f32_e32 v234, 0x3eedf032, v153
	v_fma_f32 v145, 0x3f62ad3f, v152, -v232
	v_sub_f32_e32 v130, v155, v130
	v_mul_f32_e32 v155, 0x3f62ad3f, v122
	v_fma_f32 v122, 0x3f116cb1, v122, -v157
	v_add_f32_e32 v130, v208, v130
	v_add_f32_e32 v154, v155, v154
	;; [unrolled: 1-line block ×3, first 2 shown]
	v_mul_f32_e32 v155, 0xbf29c268, v151
	v_add_f32_e32 v130, v131, v130
	v_mul_f32_e32 v131, 0xbf7e222b, v147
	v_add_f32_e32 v154, v207, v154
	v_sub_f32_e32 v155, v226, v155
	v_sub_f32_e32 v131, v163, v131
	v_add_f32_e32 v130, v131, v130
	v_mul_f32_e32 v131, 0xbf6f5d39, v149
	v_sub_f32_e32 v131, v167, v131
	v_add_f32_e32 v130, v131, v130
	v_mul_f32_e32 v131, 0x3f116cb1, v123
	v_fma_f32 v123, 0xbeb58ec6, v123, -v160
	v_add_f32_e32 v130, v155, v130
	v_add_f32_e32 v131, v131, v156
	;; [unrolled: 1-line block ×3, first 2 shown]
	v_fma_f32 v123, 0xbf788fa5, v146, -v164
	v_mul_f32_e32 v155, 0xbe750f2a, v153
	v_add_f32_e32 v131, v131, v154
	v_mul_f32_e32 v154, 0x3df6dbef, v146
	v_add_f32_e32 v122, v123, v122
	v_fma_f32 v123, 0xbf3f9e67, v148, -v227
	v_sub_f32_e32 v155, v228, v155
	v_add_f32_e32 v154, v154, v158
	v_add_f32_e32 v122, v123, v122
	v_fma_f32 v123, 0x3df6dbef, v150, -v230
	v_add_f32_e32 v131, v154, v131
	v_mul_f32_e32 v154, 0xbeb58ec6, v148
	v_add_f32_e32 v144, v123, v122
	buffer_load_dword v122, off, s[16:19], 0 offset:120 ; 4-byte Folded Reload
	v_add_f32_e32 v123, v239, v139
	v_add_f32_e32 v154, v154, v162
	;; [unrolled: 1-line block ×4, first 2 shown]
	v_mul_f32_e32 v154, 0xbf3f9e67, v150
	v_add_f32_e32 v154, v154, v165
	v_add_f32_e32 v154, v154, v131
	v_mul_f32_e32 v131, 0xbf788fa5, v152
	v_add_f32_e32 v156, v131, v225
	v_add_f32_e32 v131, v155, v130
	;; [unrolled: 1-line block ×3, first 2 shown]
	s_waitcnt vmcnt(0)
	v_lshl_add_u32 v146, v122, 3, v210
	v_add_f32_e32 v122, v140, v138
	v_add_f32_e32 v138, v145, v144
	ds_write2_b64 v146, v[116:117], v[130:131] offset1:1
	ds_write2_b64 v146, v[128:129], v[126:127] offset0:2 offset1:3
	ds_write2_b64 v146, v[124:125], v[120:121] offset0:4 offset1:5
	;; [unrolled: 1-line block ×5, first 2 shown]
	ds_write_b64 v146, v[142:143] offset:96
.LBB0_17:
	s_or_b32 exec_lo, exec_lo, s1
	s_waitcnt lgkmcnt(0)
	s_barrier
	buffer_gl0_inv
	ds_read2_b64 v[116:119], v209 offset0:156 offset1:195
	v_add_nc_u32_e32 v131, 0x800, v209
	v_add_nc_u32_e32 v129, 0x1000, v209
	ds_read2_b64 v[132:135], v131 offset0:134 offset1:173
	ds_read2_b64 v[136:139], v129 offset0:34 offset1:73
	v_add_nc_u32_e32 v130, 0x1800, v209
	v_add_nc_u32_e32 v128, 0x400, v209
	ds_read2_b64 v[124:127], v209 offset1:39
	ds_read2_b64 v[120:123], v209 offset0:78 offset1:117
	ds_read2_b64 v[144:147], v130 offset0:12 offset1:51
	ds_read_b64 v[140:141], v209 offset:7488
	ds_read2_b64 v[148:151], v128 offset0:106 offset1:145
	ds_read2_b64 v[152:155], v129 offset0:112 offset1:151
	;; [unrolled: 1-line block ×6, first 2 shown]
	s_waitcnt lgkmcnt(0)
	s_barrier
	buffer_gl0_inv
	v_mul_f32_e32 v168, v33, v119
	v_mul_f32_e32 v33, v33, v118
	v_fmac_f32_e32 v168, v32, v118
	v_mul_f32_e32 v118, v35, v133
	v_mul_f32_e32 v35, v35, v132
	v_fma_f32 v32, v32, v119, -v33
	v_mul_f32_e32 v119, v11, v135
	v_mul_f32_e32 v169, v21, v139
	v_fmac_f32_e32 v118, v34, v132
	v_fma_f32 v33, v34, v133, -v35
	v_mul_f32_e32 v35, v9, v149
	v_mul_f32_e32 v9, v9, v148
	v_fmac_f32_e32 v119, v10, v134
	v_mul_f32_e32 v133, v29, v153
	v_mul_f32_e32 v21, v21, v138
	v_fmac_f32_e32 v35, v8, v148
	v_fma_f32 v132, v8, v149, -v9
	v_mul_f32_e32 v8, v11, v134
	v_mul_f32_e32 v9, v29, v152
	;; [unrolled: 1-line block ×5, first 2 shown]
	v_fma_f32 v31, v10, v135, -v8
	v_fma_f32 v134, v28, v153, -v9
	v_mul_f32_e32 v135, v41, v151
	v_mul_f32_e32 v8, v41, v150
	;; [unrolled: 1-line block ×4, first 2 shown]
	v_fmac_f32_e32 v169, v20, v138
	v_fmac_f32_e32 v135, v40, v150
	v_fma_f32 v40, v40, v151, -v8
	v_fmac_f32_e32 v41, v42, v156
	v_fma_f32 v42, v42, v157, -v9
	v_mul_f32_e32 v8, v37, v154
	v_mul_f32_e32 v9, v39, v160
	v_fma_f32 v21, v20, v139, -v21
	v_mul_f32_e32 v20, v23, v144
	v_fmac_f32_e32 v34, v22, v144
	v_mul_f32_e32 v138, v39, v161
	v_mul_f32_e32 v10, v25, v164
	v_fma_f32 v39, v36, v155, -v8
	v_fma_f32 v144, v38, v161, -v9
	v_mul_f32_e32 v8, v27, v158
	v_mul_f32_e32 v9, v17, v225
	v_fma_f32 v22, v22, v145, -v20
	v_fmac_f32_e32 v29, v30, v146
	v_fma_f32 v30, v30, v147, -v11
	v_fma_f32 v145, v24, v165, -v10
	v_mul_f32_e32 v147, v17, v226
	v_mul_f32_e32 v148, v19, v163
	v_fma_f32 v149, v26, v159, -v8
	v_fma_f32 v150, v16, v226, -v9
	v_mul_f32_e32 v8, v19, v162
	v_mul_f32_e32 v9, v13, v166
	;; [unrolled: 1-line block ×3, first 2 shown]
	v_fmac_f32_e32 v147, v16, v225
	v_fmac_f32_e32 v148, v18, v162
	v_fma_f32 v151, v18, v163, -v8
	v_fma_f32 v16, v12, v167, -v9
	;; [unrolled: 1-line block ×3, first 2 shown]
	v_mul_f32_e32 v18, v5, v228
	v_mul_f32_e32 v9, v5, v227
	v_add_f32_e32 v10, v124, v168
	v_mul_f32_e32 v20, v13, v167
	v_mul_f32_e32 v19, v15, v137
	v_fmac_f32_e32 v18, v4, v227
	v_fma_f32 v4, v4, v228, -v9
	v_add_f32_e32 v9, v10, v118
	v_fmac_f32_e32 v20, v12, v166
	v_fmac_f32_e32 v19, v14, v136
	v_add_f32_e32 v8, v118, v169
	v_mul_f32_e32 v137, v7, v141
	v_sub_f32_e32 v10, v168, v118
	v_sub_f32_e32 v12, v34, v169
	v_add_f32_e32 v14, v168, v34
	v_mul_f32_e32 v7, v7, v140
	v_add_f32_e32 v9, v9, v169
	v_mul_f32_e32 v139, v25, v165
	v_fma_f32 v5, -0.5, v8, v124
	v_sub_f32_e32 v11, v32, v22
	v_fmac_f32_e32 v137, v6, v140
	v_sub_f32_e32 v13, v33, v21
	v_add_f32_e32 v15, v10, v12
	v_fma_f32 v10, -0.5, v14, v124
	v_fma_f32 v7, v6, v141, -v7
	v_add_f32_e32 v14, v9, v34
	v_sub_f32_e32 v6, v118, v168
	v_sub_f32_e32 v9, v169, v34
	v_add_f32_e32 v23, v125, v32
	v_fmac_f32_e32 v139, v24, v164
	v_mul_f32_e32 v146, v27, v159
	v_fmamk_f32 v8, v11, 0xbf737871, v5
	v_fmac_f32_e32 v5, 0x3f737871, v11
	v_fmamk_f32 v12, v13, 0x3f737871, v10
	v_add_f32_e32 v24, v33, v21
	v_add_f32_e32 v25, v6, v9
	v_fmac_f32_e32 v10, 0xbf737871, v13
	v_add_f32_e32 v9, v23, v33
	v_fmac_f32_e32 v133, v28, v152
	v_fmac_f32_e32 v146, v26, v158
	;; [unrolled: 1-line block ×5, first 2 shown]
	v_fma_f32 v6, -0.5, v24, v125
	v_sub_f32_e32 v24, v168, v34
	v_fmac_f32_e32 v10, 0x3f167918, v11
	v_add_f32_e32 v13, v9, v21
	v_add_f32_e32 v11, v32, v22
	v_sub_f32_e32 v26, v32, v33
	v_sub_f32_e32 v27, v22, v21
	v_fmac_f32_e32 v8, 0x3e9e377a, v15
	v_fmac_f32_e32 v5, 0x3e9e377a, v15
	;; [unrolled: 1-line block ×3, first 2 shown]
	v_fmamk_f32 v9, v24, 0x3f737871, v6
	v_sub_f32_e32 v23, v118, v169
	v_fmac_f32_e32 v10, 0x3e9e377a, v25
	v_fma_f32 v11, -0.5, v11, v125
	v_add_f32_e32 v15, v13, v22
	v_add_f32_e32 v25, v26, v27
	v_fmac_f32_e32 v6, 0xbf737871, v24
	v_sub_f32_e32 v26, v33, v32
	v_sub_f32_e32 v21, v21, v22
	v_add_f32_e32 v22, v119, v133
	v_add_f32_e32 v27, v126, v35
	v_fmac_f32_e32 v9, 0x3f167918, v23
	v_fmamk_f32 v13, v23, 0xbf737871, v11
	v_fmac_f32_e32 v6, 0xbf167918, v23
	v_add_f32_e32 v26, v26, v21
	v_fma_f32 v21, -0.5, v22, v126
	v_fmac_f32_e32 v11, 0x3f737871, v23
	v_add_f32_e32 v22, v27, v119
	v_fmac_f32_e32 v9, 0x3e9e377a, v25
	v_fmac_f32_e32 v13, 0x3f167918, v24
	v_sub_f32_e32 v28, v132, v30
	v_fmac_f32_e32 v6, 0x3e9e377a, v25
	v_sub_f32_e32 v25, v35, v119
	v_sub_f32_e32 v27, v29, v133
	v_add_f32_e32 v33, v35, v29
	v_fmac_f32_e32 v11, 0xbf167918, v24
	v_add_f32_e32 v22, v22, v133
	v_fmac_f32_e32 v13, 0x3e9e377a, v26
	v_fmamk_f32 v23, v28, 0xbf737871, v21
	v_sub_f32_e32 v32, v31, v134
	v_add_f32_e32 v24, v25, v27
	v_fma_f32 v126, -0.5, v33, v126
	v_fmac_f32_e32 v11, 0x3e9e377a, v26
	v_add_f32_e32 v25, v22, v29
	v_fmac_f32_e32 v21, 0x3f737871, v28
	v_sub_f32_e32 v22, v119, v35
	v_sub_f32_e32 v26, v133, v29
	v_add_f32_e32 v33, v127, v132
	v_add_f32_e32 v34, v31, v134
	v_fmac_f32_e32 v23, 0xbf167918, v32
	v_fmamk_f32 v27, v32, 0x3f737871, v126
	v_fmac_f32_e32 v21, 0x3f167918, v32
	v_add_f32_e32 v26, v22, v26
	v_fmac_f32_e32 v126, 0xbf737871, v32
	v_add_f32_e32 v32, v33, v31
	v_fma_f32 v22, -0.5, v34, v127
	v_sub_f32_e32 v33, v35, v29
	v_add_f32_e32 v29, v132, v30
	v_sub_f32_e32 v34, v132, v31
	v_sub_f32_e32 v35, v30, v134
	v_mul_f32_e32 v43, v37, v155
	v_fmac_f32_e32 v23, 0x3e9e377a, v24
	v_fmac_f32_e32 v27, 0xbf167918, v28
	v_fmac_f32_e32 v21, 0x3e9e377a, v24
	v_fmac_f32_e32 v126, 0x3f167918, v28
	v_add_f32_e32 v28, v32, v134
	v_fmamk_f32 v24, v33, 0x3f737871, v22
	v_sub_f32_e32 v32, v119, v133
	v_fmac_f32_e32 v127, -0.5, v29
	v_add_f32_e32 v34, v34, v35
	v_fmac_f32_e32 v22, 0xbf737871, v33
	v_add_f32_e32 v35, v120, v135
	v_fmac_f32_e32 v43, v36, v154
	v_fmac_f32_e32 v138, v38, v160
	;; [unrolled: 1-line block ×4, first 2 shown]
	v_add_f32_e32 v26, v28, v30
	v_fmac_f32_e32 v24, 0x3f167918, v32
	v_fmamk_f32 v28, v32, 0xbf737871, v127
	v_sub_f32_e32 v29, v31, v132
	v_sub_f32_e32 v30, v134, v30
	v_fmac_f32_e32 v22, 0xbf167918, v32
	v_fmac_f32_e32 v127, 0x3f737871, v32
	v_add_f32_e32 v32, v35, v41
	v_add_f32_e32 v31, v41, v43
	v_fmac_f32_e32 v28, 0x3f167918, v33
	v_add_f32_e32 v30, v29, v30
	v_sub_f32_e32 v35, v135, v41
	v_sub_f32_e32 v37, v138, v43
	v_add_f32_e32 v38, v135, v138
	v_fmac_f32_e32 v127, 0xbf167918, v33
	v_add_f32_e32 v32, v32, v43
	v_fmac_f32_e32 v24, 0x3e9e377a, v34
	v_fma_f32 v29, -0.5, v31, v120
	v_sub_f32_e32 v36, v40, v144
	v_fmac_f32_e32 v22, 0x3e9e377a, v34
	v_fmac_f32_e32 v28, 0x3e9e377a, v30
	v_sub_f32_e32 v34, v42, v39
	v_add_f32_e32 v118, v35, v37
	v_fma_f32 v33, -0.5, v38, v120
	v_fmac_f32_e32 v127, 0x3e9e377a, v30
	v_add_f32_e32 v35, v32, v138
	v_sub_f32_e32 v30, v41, v135
	v_sub_f32_e32 v32, v43, v138
	v_add_f32_e32 v38, v121, v40
	v_add_f32_e32 v119, v42, v39
	v_fmamk_f32 v31, v36, 0xbf737871, v29
	v_fmac_f32_e32 v29, 0x3f737871, v36
	v_fmamk_f32 v37, v34, 0x3f737871, v33
	v_add_f32_e32 v120, v30, v32
	v_fmac_f32_e32 v33, 0xbf737871, v34
	v_add_f32_e32 v32, v38, v42
	v_fma_f32 v30, -0.5, v119, v121
	v_sub_f32_e32 v119, v135, v138
	v_fmac_f32_e32 v31, 0xbf167918, v34
	v_fmac_f32_e32 v29, 0x3f167918, v34
	;; [unrolled: 1-line block ×4, first 2 shown]
	v_add_f32_e32 v36, v32, v39
	v_fmamk_f32 v32, v119, 0x3f737871, v30
	v_add_f32_e32 v34, v40, v144
	v_sub_f32_e32 v41, v41, v43
	v_sub_f32_e32 v38, v40, v42
	;; [unrolled: 1-line block ×3, first 2 shown]
	v_fmac_f32_e32 v30, 0xbf737871, v119
	v_fmac_f32_e32 v31, 0x3e9e377a, v118
	;; [unrolled: 1-line block ×3, first 2 shown]
	v_fma_f32 v34, -0.5, v34, v121
	v_fmac_f32_e32 v32, 0x3f167918, v41
	v_add_f32_e32 v43, v38, v43
	v_sub_f32_e32 v40, v42, v40
	v_sub_f32_e32 v39, v39, v144
	v_add_f32_e32 v42, v146, v147
	v_fmac_f32_e32 v30, 0xbf167918, v41
	v_add_f32_e32 v118, v122, v139
	v_fmamk_f32 v38, v41, 0xbf737871, v34
	v_fmac_f32_e32 v32, 0x3e9e377a, v43
	v_add_f32_e32 v40, v40, v39
	v_fma_f32 v39, -0.5, v42, v122
	v_sub_f32_e32 v42, v145, v151
	v_fmac_f32_e32 v30, 0x3e9e377a, v43
	v_fmac_f32_e32 v34, 0x3f737871, v41
	v_add_f32_e32 v43, v118, v146
	v_add_f32_e32 v124, v139, v148
	v_fmac_f32_e32 v37, 0x3e9e377a, v120
	v_fmac_f32_e32 v33, 0x3e9e377a, v120
	;; [unrolled: 1-line block ×3, first 2 shown]
	v_fmamk_f32 v41, v42, 0xbf737871, v39
	v_sub_f32_e32 v121, v149, v150
	v_sub_f32_e32 v118, v139, v146
	;; [unrolled: 1-line block ×3, first 2 shown]
	v_fmac_f32_e32 v34, 0xbf167918, v119
	v_add_f32_e32 v43, v43, v147
	v_fma_f32 v122, -0.5, v124, v122
	v_fmac_f32_e32 v39, 0x3f737871, v42
	v_add_f32_e32 v124, v123, v145
	v_fmac_f32_e32 v38, 0x3e9e377a, v40
	v_fmac_f32_e32 v41, 0xbf167918, v121
	v_add_f32_e32 v119, v118, v120
	v_fmac_f32_e32 v34, 0x3e9e377a, v40
	v_add_f32_e32 v118, v43, v148
	v_fmamk_f32 v120, v121, 0x3f737871, v122
	v_sub_f32_e32 v40, v146, v139
	v_sub_f32_e32 v43, v147, v148
	v_fmac_f32_e32 v39, 0x3f167918, v121
	v_add_f32_e32 v125, v149, v150
	v_fmac_f32_e32 v122, 0xbf737871, v121
	v_add_f32_e32 v121, v124, v149
	v_fmac_f32_e32 v41, 0x3e9e377a, v119
	v_fmac_f32_e32 v120, 0xbf167918, v42
	v_add_f32_e32 v43, v40, v43
	v_fma_f32 v40, -0.5, v125, v123
	v_sub_f32_e32 v125, v139, v148
	v_fmac_f32_e32 v39, 0x3e9e377a, v119
	v_fmac_f32_e32 v122, 0x3f167918, v42
	v_add_f32_e32 v119, v121, v150
	v_add_f32_e32 v121, v145, v151
	v_sub_f32_e32 v132, v145, v149
	v_sub_f32_e32 v133, v151, v150
	v_fmac_f32_e32 v120, 0x3e9e377a, v43
	v_fmamk_f32 v42, v125, 0x3f737871, v40
	v_sub_f32_e32 v124, v146, v147
	v_fmac_f32_e32 v122, 0x3e9e377a, v43
	v_fmac_f32_e32 v123, -0.5, v121
	v_add_f32_e32 v43, v132, v133
	v_fmac_f32_e32 v40, 0xbf737871, v125
	v_sub_f32_e32 v132, v149, v145
	v_sub_f32_e32 v133, v150, v151
	v_add_f32_e32 v134, v19, v18
	v_fmac_f32_e32 v42, 0x3f167918, v124
	v_fmamk_f32 v121, v124, 0xbf737871, v123
	v_fmac_f32_e32 v40, 0xbf167918, v124
	v_add_f32_e32 v133, v132, v133
	v_fmac_f32_e32 v123, 0x3f737871, v124
	v_add_f32_e32 v132, v116, v20
	v_fma_f32 v124, -0.5, v134, v116
	v_sub_f32_e32 v135, v16, v7
	v_fmac_f32_e32 v42, 0x3e9e377a, v43
	v_fmac_f32_e32 v121, 0x3f167918, v125
	;; [unrolled: 1-line block ×4, first 2 shown]
	v_add_f32_e32 v43, v132, v19
	v_fmamk_f32 v132, v135, 0xbf737871, v124
	v_sub_f32_e32 v125, v17, v4
	v_sub_f32_e32 v134, v20, v19
	;; [unrolled: 1-line block ×3, first 2 shown]
	v_fmac_f32_e32 v124, 0x3f737871, v135
	v_add_f32_e32 v138, v20, v137
	v_add_f32_e32 v43, v43, v18
	v_fmac_f32_e32 v132, 0xbf167918, v125
	v_add_f32_e32 v136, v134, v136
	v_fmac_f32_e32 v124, 0x3f167918, v125
	v_fma_f32 v116, -0.5, v138, v116
	v_fmac_f32_e32 v121, 0x3e9e377a, v133
	v_fmac_f32_e32 v123, 0x3e9e377a, v133
	v_add_f32_e32 v134, v43, v137
	v_fmac_f32_e32 v132, 0x3e9e377a, v136
	v_fmac_f32_e32 v124, 0x3e9e377a, v136
	v_fmamk_f32 v136, v125, 0x3f737871, v116
	v_add_f32_e32 v43, v17, v4
	v_sub_f32_e32 v133, v19, v20
	v_sub_f32_e32 v138, v18, v137
	v_fmac_f32_e32 v116, 0xbf737871, v125
	v_add_f32_e32 v139, v117, v16
	v_sub_f32_e32 v20, v20, v137
	v_add_f32_e32 v137, v16, v7
	v_fma_f32 v125, -0.5, v43, v117
	v_fmac_f32_e32 v136, 0xbf167918, v135
	v_add_f32_e32 v43, v133, v138
	v_fmac_f32_e32 v116, 0x3f167918, v135
	v_add_f32_e32 v135, v139, v17
	v_sub_f32_e32 v18, v19, v18
	v_fmac_f32_e32 v117, -0.5, v137
	v_fmac_f32_e32 v136, 0x3e9e377a, v43
	v_fmac_f32_e32 v116, 0x3e9e377a, v43
	v_add_f32_e32 v19, v135, v4
	v_sub_f32_e32 v43, v16, v17
	v_sub_f32_e32 v135, v7, v4
	v_fmamk_f32 v137, v18, 0xbf737871, v117
	v_sub_f32_e32 v16, v17, v16
	v_sub_f32_e32 v4, v4, v7
	v_fmac_f32_e32 v117, 0x3f737871, v18
	v_add_f32_e32 v36, v36, v144
	v_fmac_f32_e32 v137, 0x3f167918, v20
	v_add_f32_e32 v119, v119, v151
	v_add_f32_e32 v4, v16, v4
	v_fmac_f32_e32 v117, 0xbf167918, v20
	v_fmamk_f32 v133, v20, 0x3f737871, v125
	v_fmac_f32_e32 v125, 0xbf737871, v20
	v_add_f32_e32 v17, v43, v135
	v_fmac_f32_e32 v137, 0x3e9e377a, v4
	v_fmac_f32_e32 v117, 0x3e9e377a, v4
	buffer_load_dword v4, off, s[16:19], 0 offset:72 ; 4-byte Folded Reload
	v_fmac_f32_e32 v133, 0x3f167918, v18
	v_fmac_f32_e32 v125, 0xbf167918, v18
	v_add_f32_e32 v135, v19, v7
	s_waitcnt vmcnt(0)
	ds_write2_b64 v4, v[14:15], v[8:9] offset1:13
	ds_write2_b64 v4, v[12:13], v[10:11] offset0:26 offset1:39
	ds_write_b64 v4, v[5:6] offset:416
	buffer_load_dword v4, off, s[16:19], 0 offset:76 ; 4-byte Folded Reload
	v_fmac_f32_e32 v133, 0x3e9e377a, v17
	v_fmac_f32_e32 v125, 0x3e9e377a, v17
	v_add_nc_u32_e32 v8, 0xc00, v209
	s_waitcnt vmcnt(0)
	ds_write2_b64 v4, v[25:26], v[23:24] offset1:13
	ds_write2_b64 v4, v[27:28], v[126:127] offset0:26 offset1:39
	ds_write_b64 v4, v[21:22] offset:416
	buffer_load_dword v4, off, s[16:19], 0 offset:88 ; 4-byte Folded Reload
	s_waitcnt vmcnt(0)
	ds_write2_b64 v4, v[35:36], v[31:32] offset1:13
	ds_write2_b64 v4, v[37:38], v[33:34] offset0:26 offset1:39
	ds_write_b64 v4, v[29:30] offset:416
	buffer_load_dword v4, off, s[16:19], 0 offset:84 ; 4-byte Folded Reload
	;; [unrolled: 5-line block ×3, first 2 shown]
	s_waitcnt vmcnt(0)
	ds_write2_b64 v4, v[134:135], v[132:133] offset1:13
	ds_write2_b64 v4, v[136:137], v[116:117] offset0:26 offset1:39
	ds_write_b64 v4, v[124:125] offset:416
	s_waitcnt lgkmcnt(0)
	s_barrier
	buffer_gl0_inv
	ds_read2_b64 v[16:19], v209 offset1:39
	ds_read2_b64 v[120:123], v131 offset0:69 offset1:108
	ds_read2_b64 v[116:119], v129 offset0:138 offset1:177
	;; [unrolled: 1-line block ×11, first 2 shown]
	s_and_saveexec_b32 s1, s0
	s_cbranch_execz .LBB0_19
; %bb.18:
	ds_read_b64 v[124:125], v209 offset:2496
	ds_read_b64 v[142:143], v209 offset:5096
	;; [unrolled: 1-line block ×3, first 2 shown]
.LBB0_19:
	s_or_b32 exec_lo, exec_lo, s1
	s_waitcnt lgkmcnt(10)
	v_mul_f32_e32 v129, v49, v121
	v_mul_f32_e32 v130, v49, v120
	s_waitcnt lgkmcnt(9)
	v_mul_f32_e32 v131, v51, v117
	v_mul_f32_e32 v51, v51, v116
	s_waitcnt lgkmcnt(0)
	v_fmac_f32_e32 v129, v48, v120
	v_mul_f32_e32 v120, v57, v123
	v_mul_f32_e32 v57, v57, v122
	v_fmac_f32_e32 v131, v50, v116
	v_fma_f32 v50, v50, v117, -v51
	v_mul_f32_e32 v51, v59, v119
	v_fmac_f32_e32 v120, v56, v122
	v_mul_f32_e32 v59, v59, v118
	v_fma_f32 v56, v56, v123, -v57
	v_mul_f32_e32 v57, v45, v41
	v_mul_f32_e32 v45, v45, v40
	v_fmac_f32_e32 v51, v58, v118
	v_fma_f32 v58, v58, v119, -v59
	v_mul_f32_e32 v59, v47, v37
	v_fmac_f32_e32 v57, v44, v40
	v_fma_f32 v41, v44, v41, -v45
	v_mul_f32_e32 v44, v53, v43
	v_mul_f32_e32 v40, v47, v36
	v_fmac_f32_e32 v59, v46, v36
	v_mul_f32_e32 v36, v53, v42
	v_mul_f32_e32 v53, v69, v25
	v_fmac_f32_e32 v44, v52, v42
	v_mul_f32_e32 v42, v55, v38
	v_fma_f32 v37, v46, v37, -v40
	v_mul_f32_e32 v40, v55, v39
	v_fma_f32 v36, v52, v43, -v36
	;; [unrolled: 2-line block ×3, first 2 shown]
	v_mul_f32_e32 v42, v63, v29
	v_fmac_f32_e32 v40, v54, v38
	v_mul_f32_e32 v38, v61, v32
	v_fmac_f32_e32 v43, v60, v32
	;; [unrolled: 2-line block ×3, first 2 shown]
	v_mul_f32_e32 v28, v73, v34
	v_mul_f32_e32 v55, v71, v21
	v_fmac_f32_e32 v53, v68, v24
	v_fma_f32 v48, v48, v121, -v130
	v_fma_f32 v46, v62, v29, -v32
	;; [unrolled: 1-line block ×3, first 2 shown]
	v_mul_f32_e32 v28, v69, v24
	v_mul_f32_e32 v24, v71, v20
	;; [unrolled: 1-line block ×3, first 2 shown]
	v_fmac_f32_e32 v55, v70, v20
	v_mul_f32_e32 v20, v65, v26
	v_mul_f32_e32 v63, v67, v23
	v_fma_f32 v62, v70, v21, -v24
	v_mul_f32_e32 v21, v67, v22
	v_fmac_f32_e32 v61, v64, v26
	v_fma_f32 v64, v64, v27, -v20
	v_add_f32_e32 v20, v129, v131
	v_fma_f32 v38, v60, v33, -v38
	v_fma_f32 v65, v66, v23, -v21
	v_add_f32_e32 v21, v48, v50
	v_fma_f32 v60, v68, v25, -v28
	v_fmac_f32_e32 v63, v66, v22
	v_add_f32_e32 v22, v16, v129
	v_fma_f32 v16, -0.5, v20, v16
	v_sub_f32_e32 v23, v48, v50
	v_add_f32_e32 v24, v17, v48
	v_fma_f32 v17, -0.5, v21, v17
	v_sub_f32_e32 v25, v129, v131
	v_add_f32_e32 v20, v22, v131
	v_fmamk_f32 v22, v23, 0xbf5db3d7, v16
	v_fmac_f32_e32 v16, 0x3f5db3d7, v23
	v_add_f32_e32 v21, v24, v50
	v_fmamk_f32 v23, v25, 0x3f5db3d7, v17
	v_fmac_f32_e32 v17, 0xbf5db3d7, v25
	s_barrier
	buffer_gl0_inv
	ds_write2_b64 v209, v[20:21], v[22:23] offset1:65
	ds_write_b64 v209, v[16:17] offset:1040
	buffer_load_dword v16, off, s[16:19], 0 offset:116 ; 4-byte Folded Reload
	v_mul_f32_e32 v29, v75, v30
	v_add_f32_e32 v24, v120, v51
	v_add_f32_e32 v25, v56, v58
	v_add_f32_e32 v26, v18, v120
	v_sub_f32_e32 v27, v56, v58
	v_fma_f32 v54, v74, v31, -v29
	v_fma_f32 v18, -0.5, v24, v18
	v_add_f32_e32 v28, v19, v56
	v_fmac_f32_e32 v19, -0.5, v25
	v_sub_f32_e32 v29, v120, v51
	v_mul_f32_e32 v47, v75, v31
	v_add_f32_e32 v24, v26, v51
	v_fmamk_f32 v26, v27, 0xbf5db3d7, v18
	v_fmac_f32_e32 v18, 0x3f5db3d7, v27
	v_add_f32_e32 v25, v28, v58
	v_add_f32_e32 v28, v57, v59
	v_fmamk_f32 v27, v29, 0x3f5db3d7, v19
	v_fmac_f32_e32 v19, 0xbf5db3d7, v29
	v_add_f32_e32 v29, v41, v37
	v_fmac_f32_e32 v47, v74, v30
	v_add_f32_e32 v30, v12, v57
	v_fma_f32 v12, -0.5, v28, v12
	v_sub_f32_e32 v31, v41, v37
	v_add_f32_e32 v32, v13, v41
	v_fma_f32 v13, -0.5, v29, v13
	v_sub_f32_e32 v33, v57, v59
	v_add_f32_e32 v28, v30, v59
	v_fmamk_f32 v30, v31, 0xbf5db3d7, v12
	v_fmac_f32_e32 v12, 0x3f5db3d7, v31
	v_add_f32_e32 v29, v32, v37
	v_fmamk_f32 v31, v33, 0x3f5db3d7, v13
	v_fmac_f32_e32 v13, 0xbf5db3d7, v33
	v_mul_f32_e32 v45, v73, v35
	v_add_f32_e32 v32, v44, v40
	v_add_f32_e32 v33, v36, v39
	v_sub_f32_e32 v35, v36, v39
	v_add_f32_e32 v36, v15, v36
	v_fmac_f32_e32 v45, v72, v34
	v_add_f32_e32 v34, v14, v44
	v_fma_f32 v14, -0.5, v32, v14
	v_fmac_f32_e32 v15, -0.5, v33
	v_sub_f32_e32 v37, v44, v40
	v_add_f32_e32 v33, v36, v39
	v_add_f32_e32 v32, v34, v40
	v_fmamk_f32 v34, v35, 0xbf5db3d7, v14
	v_fmac_f32_e32 v14, 0x3f5db3d7, v35
	v_add_f32_e32 v36, v43, v42
	v_fmamk_f32 v35, v37, 0x3f5db3d7, v15
	v_add_f32_e32 v39, v4, v43
	v_fmac_f32_e32 v15, 0xbf5db3d7, v37
	v_add_f32_e32 v37, v38, v46
	v_fma_f32 v4, -0.5, v36, v4
	v_sub_f32_e32 v40, v38, v46
	v_add_f32_e32 v36, v39, v42
	v_add_f32_e32 v39, v5, v38
	v_fma_f32 v5, -0.5, v37, v5
	v_sub_f32_e32 v41, v43, v42
	v_fmamk_f32 v38, v40, 0xbf5db3d7, v4
	v_fmac_f32_e32 v4, 0x3f5db3d7, v40
	v_add_f32_e32 v37, v39, v46
	v_add_f32_e32 v40, v45, v47
	v_fmamk_f32 v39, v41, 0x3f5db3d7, v5
	v_fmac_f32_e32 v5, 0xbf5db3d7, v41
	v_add_f32_e32 v41, v52, v54
	v_add_f32_e32 v42, v6, v45
	v_fma_f32 v6, -0.5, v40, v6
	v_sub_f32_e32 v43, v52, v54
	v_add_f32_e32 v44, v7, v52
	v_fmac_f32_e32 v7, -0.5, v41
	v_sub_f32_e32 v45, v45, v47
	v_add_f32_e32 v40, v42, v47
	v_fmamk_f32 v42, v43, 0xbf5db3d7, v6
	v_fmac_f32_e32 v6, 0x3f5db3d7, v43
	v_add_f32_e32 v41, v44, v54
	v_fmamk_f32 v43, v45, 0x3f5db3d7, v7
	v_fmac_f32_e32 v7, 0xbf5db3d7, v45
	v_add_f32_e32 v44, v53, v55
	v_add_f32_e32 v45, v60, v62
	v_add_f32_e32 v46, v8, v53
	v_sub_f32_e32 v47, v60, v62
	v_add_f32_e32 v48, v9, v60
	v_fma_f32 v8, -0.5, v44, v8
	v_fma_f32 v9, -0.5, v45, v9
	v_sub_f32_e32 v50, v53, v55
	v_add_f32_e32 v44, v46, v55
	v_add_f32_e32 v45, v48, v62
	v_fmamk_f32 v46, v47, 0xbf5db3d7, v8
	v_fmac_f32_e32 v8, 0x3f5db3d7, v47
	v_add_f32_e32 v48, v61, v63
	v_fmamk_f32 v47, v50, 0x3f5db3d7, v9
	v_fmac_f32_e32 v9, 0xbf5db3d7, v50
	v_add_f32_e32 v50, v64, v65
	v_add_f32_e32 v51, v10, v61
	v_fma_f32 v10, -0.5, v48, v10
	v_sub_f32_e32 v48, v64, v65
	v_add_f32_e32 v53, v11, v64
	v_fmac_f32_e32 v11, -0.5, v50
	v_sub_f32_e32 v54, v61, v63
	v_add_nc_u32_e32 v127, 0x270, v224
	v_add_nc_u32_e32 v126, 0x3a8, v224
	;; [unrolled: 1-line block ×3, first 2 shown]
	v_add_f32_e32 v50, v51, v63
	v_fmamk_f32 v52, v48, 0xbf5db3d7, v10
	v_add_f32_e32 v51, v53, v65
	v_fmamk_f32 v53, v54, 0x3f5db3d7, v11
	v_fmac_f32_e32 v10, 0x3f5db3d7, v48
	v_fmac_f32_e32 v11, 0xbf5db3d7, v54
	s_waitcnt vmcnt(0)
	ds_write2_b64 v16, v[24:25], v[26:27] offset1:65
	ds_write_b64 v16, v[18:19] offset:1040
	ds_write2_b64 v128, v[28:29], v[30:31] offset0:80 offset1:145
	s_clause 0x1
	buffer_load_dword v17, off, s[16:19], 0 offset:108
	buffer_load_dword v18, off, s[16:19], 0 offset:112
	ds_write_b64 v209, v[12:13] offset:2704
	buffer_load_dword v13, off, s[16:19], 0 offset:104 ; 4-byte Folded Reload
	s_waitcnt vmcnt(2)
	v_add_nc_u32_e32 v16, 0x800, v17
	s_waitcnt vmcnt(1)
	ds_write2_b64 v18, v[32:33], v[34:35] offset1:65
	ds_write_b64 v18, v[14:15] offset:1040
	ds_write2_b64 v16, v[36:37], v[38:39] offset0:134 offset1:199
	ds_write_b64 v17, v[4:5] offset:4160
	s_waitcnt vmcnt(0)
	v_add_nc_u32_e32 v12, 0x1000, v13
	buffer_load_dword v5, off, s[16:19], 0 offset:96 ; 4-byte Folded Reload
	ds_write2_b64 v12, v[40:41], v[42:43] offset0:73 offset1:138
	ds_write_b64 v13, v[6:7] offset:5720
	buffer_load_dword v6, off, s[16:19], 0 offset:100 ; 4-byte Folded Reload
	s_waitcnt vmcnt(1)
	v_add_nc_u32_e32 v4, 0x1800, v5
	s_waitcnt vmcnt(0)
	ds_write2_b64 v6, v[44:45], v[46:47] offset1:65
	ds_write_b64 v6, v[8:9] offset:1040
	ds_write2_b64 v4, v[50:51], v[52:53] offset0:12 offset1:77
	ds_write_b64 v5, v[10:11] offset:7280
	s_and_saveexec_b32 s1, s0
	s_cbranch_execz .LBB0_21
; %bb.20:
	v_mul_f32_e32 v4, v1, v142
	v_mul_f32_e32 v6, v1, v143
	buffer_load_dword v1, off, s[16:19], 0 offset:92 ; 4-byte Folded Reload
	v_mul_f32_e32 v5, v3, v205
	v_mul_f32_e32 v7, v3, v206
	v_fma_f32 v3, v0, v143, -v4
	v_fmac_f32_e32 v6, v0, v142
	v_fma_f32 v4, v2, v206, -v5
	v_fmac_f32_e32 v7, v2, v205
	v_add_f32_e32 v5, v125, v3
	v_add_f32_e32 v0, v3, v4
	;; [unrolled: 1-line block ×3, first 2 shown]
	v_sub_f32_e32 v9, v6, v7
	v_sub_f32_e32 v10, v3, v4
	v_add_f32_e32 v3, v5, v4
	s_waitcnt vmcnt(0)
	v_lshl_add_u32 v8, v1, 3, v210
	v_fma_f32 v1, -0.5, v0, v125
	v_fma_f32 v0, -0.5, v2, v124
	v_add_f32_e32 v2, v124, v6
	v_add_nc_u32_e32 v6, 0x1800, v8
	v_fmamk_f32 v5, v9, 0xbf5db3d7, v1
	v_fmac_f32_e32 v1, 0x3f5db3d7, v9
	v_fmamk_f32 v4, v10, 0x3f5db3d7, v0
	v_add_f32_e32 v2, v2, v7
	v_fmac_f32_e32 v0, 0xbf5db3d7, v10
	ds_write2_b64 v6, v[2:3], v[0:1] offset0:12 offset1:77
	ds_write_b64 v8, v[4:5] offset:7280
.LBB0_21:
	s_or_b32 exec_lo, exec_lo, s1
	s_waitcnt lgkmcnt(0)
	s_barrier
	buffer_gl0_inv
	ds_read2_b64 v[0:3], v209 offset0:156 offset1:195
	v_add_nc_u32_e32 v20, 0x800, v209
	v_add_nc_u32_e32 v19, 0x1000, v209
	ds_read2_b64 v[12:15], v20 offset0:134 offset1:173
	ds_read2_b64 v[26:29], v19 offset0:34 offset1:73
	v_add_nc_u32_e32 v18, 0x1800, v209
	v_add_nc_u32_e32 v21, 0x400, v209
	ds_read2_b64 v[8:11], v209 offset1:39
	ds_read2_b64 v[4:7], v209 offset0:78 offset1:117
	ds_read2_b64 v[22:25], v18 offset0:12 offset1:51
	ds_read_b64 v[16:17], v209 offset:7488
	ds_read2_b64 v[30:33], v21 offset0:106 offset1:145
	ds_read2_b64 v[34:37], v19 offset0:112 offset1:151
	;; [unrolled: 1-line block ×6, first 2 shown]
	s_mov_b32 s2, 0xaa677344
	s_mov_b32 s3, 0x3f50cdd9
	s_mul_hi_u32 s1, s8, 0x4b
	s_mul_i32 s4, s8, 0x4b
	s_waitcnt lgkmcnt(12)
	v_mul_f32_e32 v46, v85, v3
	v_mul_f32_e32 v47, v85, v2
	v_fmac_f32_e32 v46, v84, v2
	s_waitcnt lgkmcnt(11)
	v_mul_f32_e32 v2, v87, v12
	v_mul_f32_e32 v48, v87, v13
	s_waitcnt lgkmcnt(10)
	v_mul_f32_e32 v59, v81, v28
	v_mul_f32_e32 v58, v81, v29
	;; [unrolled: 1-line block ×3, first 2 shown]
	v_fma_f32 v60, v86, v13, -v2
	s_waitcnt lgkmcnt(7)
	v_mul_f32_e32 v2, v83, v22
	v_fmac_f32_e32 v48, v86, v12
	s_waitcnt lgkmcnt(5)
	v_mul_f32_e32 v12, v77, v30
	v_mul_f32_e32 v13, v91, v24
	v_fma_f32 v29, v80, v29, -v59
	v_fma_f32 v62, v82, v23, -v2
	v_mul_f32_e32 v2, v79, v14
	v_fma_f32 v63, v76, v31, -v12
	s_waitcnt lgkmcnt(4)
	v_mul_f32_e32 v12, v89, v34
	v_mul_f32_e32 v59, v77, v31
	v_fma_f32 v68, v90, v25, -v13
	v_fma_f32 v66, v78, v15, -v2
	v_mul_f32_e32 v2, v101, v32
	v_fma_f32 v67, v88, v35, -v12
	s_waitcnt lgkmcnt(3)
	v_mul_f32_e32 v12, v103, v38
	s_waitcnt lgkmcnt(1)
	v_mul_f32_e32 v13, v93, v50
	v_fmac_f32_e32 v59, v76, v30
	v_fma_f32 v72, v100, v33, -v2
	v_mul_f32_e32 v2, v97, v36
	v_fmac_f32_e32 v61, v78, v14
	v_mul_f32_e32 v65, v91, v25
	v_fma_f32 v73, v102, v39, -v12
	v_mul_f32_e32 v12, v99, v42
	v_fma_f32 v76, v96, v37, -v2
	v_fma_f32 v78, v92, v51, -v13
	v_mul_f32_e32 v2, v95, v40
	v_mul_f32_e32 v13, v111, v26
	v_fma_f32 v47, v84, v3, -v47
	v_fmac_f32_e32 v58, v80, v28
	v_mul_f32_e32 v3, v83, v23
	v_fmac_f32_e32 v65, v90, v24
	v_fma_f32 v77, v98, v43, -v12
	s_waitcnt lgkmcnt(0)
	v_mul_f32_e32 v12, v105, v54
	v_fma_f32 v81, v94, v41, -v2
	v_mul_f32_e32 v2, v107, v44
	v_mul_f32_e32 v24, v111, v27
	v_fma_f32 v23, v110, v27, -v13
	v_mul_f32_e32 v13, v113, v56
	v_add_f32_e32 v14, v8, v46
	v_fmac_f32_e32 v3, v82, v22
	v_fma_f32 v82, v104, v55, -v12
	v_mul_f32_e32 v12, v109, v52
	v_fma_f32 v83, v106, v45, -v2
	v_fmac_f32_e32 v24, v110, v26
	v_add_f32_e32 v2, v48, v58
	v_mul_f32_e32 v84, v115, v17
	v_fma_f32 v26, v112, v57, -v13
	v_add_f32_e32 v13, v14, v48
	v_mul_f32_e32 v69, v101, v33
	v_fma_f32 v22, v108, v53, -v12
	v_fma_f32 v12, -0.5, v2, v8
	v_sub_f32_e32 v15, v47, v62
	v_fmac_f32_e32 v84, v114, v16
	v_sub_f32_e32 v14, v46, v48
	v_sub_f32_e32 v28, v3, v58
	v_add_f32_e32 v31, v46, v3
	v_mul_f32_e32 v16, v115, v16
	v_add_f32_e32 v13, v13, v58
	v_fmac_f32_e32 v69, v100, v32
	v_fmamk_f32 v2, v15, 0xbf737871, v12
	v_sub_f32_e32 v30, v60, v29
	v_add_f32_e32 v32, v14, v28
	v_fma_f32 v8, -0.5, v31, v8
	v_fma_f32 v28, v114, v17, -v16
	v_add_f32_e32 v16, v13, v3
	v_fmac_f32_e32 v12, 0x3f737871, v15
	v_sub_f32_e32 v13, v48, v46
	v_sub_f32_e32 v17, v58, v3
	v_add_f32_e32 v31, v9, v47
	v_add_f32_e32 v33, v60, v29
	v_mul_f32_e32 v64, v89, v35
	v_fmac_f32_e32 v2, 0xbf167918, v30
	v_fmamk_f32 v14, v30, 0x3f737871, v8
	v_fmac_f32_e32 v12, 0x3f167918, v30
	v_add_f32_e32 v17, v13, v17
	v_fmac_f32_e32 v8, 0xbf737871, v30
	v_add_f32_e32 v30, v31, v60
	v_fma_f32 v13, -0.5, v33, v9
	v_sub_f32_e32 v33, v46, v3
	v_fmac_f32_e32 v64, v88, v34
	v_fmac_f32_e32 v2, 0x3e9e377a, v32
	;; [unrolled: 1-line block ×5, first 2 shown]
	v_add_f32_e32 v15, v30, v29
	v_fmamk_f32 v3, v33, 0x3f737871, v13
	v_add_f32_e32 v30, v47, v62
	v_sub_f32_e32 v31, v48, v58
	v_sub_f32_e32 v32, v47, v60
	;; [unrolled: 1-line block ×3, first 2 shown]
	v_fmac_f32_e32 v13, 0xbf737871, v33
	v_mul_f32_e32 v70, v103, v39
	v_fma_f32 v9, -0.5, v30, v9
	v_fmac_f32_e32 v3, 0x3f167918, v31
	v_add_f32_e32 v30, v32, v34
	v_sub_f32_e32 v32, v60, v47
	v_sub_f32_e32 v29, v29, v62
	v_add_f32_e32 v34, v61, v64
	v_fmac_f32_e32 v13, 0xbf167918, v31
	v_add_f32_e32 v35, v10, v59
	v_mul_f32_e32 v71, v97, v37
	v_fmac_f32_e32 v70, v102, v38
	v_fmac_f32_e32 v14, 0x3e9e377a, v17
	v_fmac_f32_e32 v8, 0x3e9e377a, v17
	v_add_f32_e32 v17, v15, v62
	v_fmamk_f32 v15, v31, 0xbf737871, v9
	v_fmac_f32_e32 v3, 0x3e9e377a, v30
	v_add_f32_e32 v32, v32, v29
	v_fma_f32 v29, -0.5, v34, v10
	v_sub_f32_e32 v34, v63, v68
	v_fmac_f32_e32 v13, 0x3e9e377a, v30
	v_fmac_f32_e32 v9, 0x3f737871, v31
	v_add_f32_e32 v30, v35, v61
	v_add_f32_e32 v38, v59, v65
	v_fmac_f32_e32 v71, v96, v36
	v_fmac_f32_e32 v15, 0x3f167918, v33
	v_fmamk_f32 v31, v34, 0xbf737871, v29
	v_sub_f32_e32 v36, v66, v67
	v_sub_f32_e32 v35, v59, v61
	;; [unrolled: 1-line block ×3, first 2 shown]
	v_fmac_f32_e32 v9, 0xbf167918, v33
	v_add_f32_e32 v30, v30, v64
	v_fma_f32 v10, -0.5, v38, v10
	v_fmac_f32_e32 v29, 0x3f737871, v34
	v_mul_f32_e32 v79, v95, v41
	v_fmac_f32_e32 v15, 0x3e9e377a, v32
	v_fmac_f32_e32 v31, 0xbf167918, v36
	v_add_f32_e32 v37, v35, v37
	v_fmac_f32_e32 v9, 0x3e9e377a, v32
	v_add_f32_e32 v33, v30, v65
	v_fmamk_f32 v35, v36, 0x3f737871, v10
	v_sub_f32_e32 v30, v61, v59
	v_sub_f32_e32 v32, v64, v65
	v_fmac_f32_e32 v29, 0x3f167918, v36
	v_add_f32_e32 v38, v11, v63
	v_add_f32_e32 v39, v66, v67
	v_fmac_f32_e32 v10, 0xbf737871, v36
	v_fmac_f32_e32 v79, v94, v40
	;; [unrolled: 1-line block ×4, first 2 shown]
	v_add_f32_e32 v40, v30, v32
	v_add_f32_e32 v32, v38, v66
	v_fma_f32 v30, -0.5, v39, v11
	v_sub_f32_e32 v38, v59, v65
	v_fmac_f32_e32 v29, 0x3e9e377a, v37
	v_fmac_f32_e32 v10, 0x3f167918, v34
	v_sub_f32_e32 v37, v63, v66
	v_sub_f32_e32 v41, v68, v67
	v_fmac_f32_e32 v35, 0x3e9e377a, v40
	v_add_f32_e32 v34, v32, v67
	v_fmamk_f32 v32, v38, 0x3f737871, v30
	v_add_f32_e32 v36, v63, v68
	v_sub_f32_e32 v39, v61, v64
	v_fmac_f32_e32 v10, 0x3e9e377a, v40
	v_add_f32_e32 v40, v37, v41
	v_fmac_f32_e32 v30, 0xbf737871, v38
	v_sub_f32_e32 v37, v66, v63
	v_sub_f32_e32 v41, v67, v68
	v_mul_f32_e32 v74, v99, v43
	v_fmac_f32_e32 v11, -0.5, v36
	v_fmac_f32_e32 v32, 0x3f167918, v39
	v_fmac_f32_e32 v30, 0xbf167918, v39
	v_add_f32_e32 v43, v37, v41
	v_add_f32_e32 v41, v4, v69
	v_fmac_f32_e32 v74, v98, v42
	v_fmamk_f32 v36, v39, 0xbf737871, v11
	v_fmac_f32_e32 v32, 0x3e9e377a, v40
	v_add_f32_e32 v42, v70, v71
	v_fmac_f32_e32 v30, 0x3e9e377a, v40
	v_fmac_f32_e32 v11, 0x3f737871, v39
	v_add_f32_e32 v40, v41, v70
	v_mul_f32_e32 v75, v93, v51
	v_mul_f32_e32 v51, v107, v45
	v_fmac_f32_e32 v36, 0x3f167918, v38
	v_fma_f32 v37, -0.5, v42, v4
	v_sub_f32_e32 v42, v72, v77
	v_sub_f32_e32 v41, v69, v70
	;; [unrolled: 1-line block ×3, first 2 shown]
	v_add_f32_e32 v46, v69, v74
	v_fmac_f32_e32 v11, 0xbf167918, v38
	v_add_f32_e32 v38, v40, v71
	v_fmac_f32_e32 v51, v106, v44
	v_fmac_f32_e32 v36, 0x3e9e377a, v43
	v_fmamk_f32 v39, v42, 0xbf737871, v37
	v_sub_f32_e32 v44, v73, v76
	v_add_f32_e32 v40, v41, v45
	v_fma_f32 v41, -0.5, v46, v4
	v_fmac_f32_e32 v11, 0x3e9e377a, v43
	v_add_f32_e32 v43, v38, v74
	v_fmac_f32_e32 v37, 0x3f737871, v42
	v_sub_f32_e32 v4, v70, v69
	v_sub_f32_e32 v38, v71, v74
	v_add_f32_e32 v47, v73, v76
	v_fmac_f32_e32 v39, 0xbf167918, v44
	v_fmamk_f32 v45, v44, 0x3f737871, v41
	v_fmac_f32_e32 v37, 0x3f167918, v44
	v_add_f32_e32 v46, v5, v72
	v_add_f32_e32 v4, v4, v38
	v_fmac_f32_e32 v41, 0xbf737871, v44
	v_fma_f32 v38, -0.5, v47, v5
	v_sub_f32_e32 v48, v69, v74
	v_fmac_f32_e32 v75, v92, v50
	v_mul_f32_e32 v80, v105, v55
	v_fmac_f32_e32 v39, 0x3e9e377a, v40
	v_fmac_f32_e32 v45, 0xbf167918, v42
	v_add_f32_e32 v44, v46, v73
	v_fmac_f32_e32 v37, 0x3e9e377a, v40
	v_fmac_f32_e32 v41, 0x3f167918, v42
	v_fmamk_f32 v40, v48, 0x3f737871, v38
	v_add_f32_e32 v42, v72, v77
	v_sub_f32_e32 v50, v70, v71
	v_sub_f32_e32 v46, v72, v73
	;; [unrolled: 1-line block ×3, first 2 shown]
	v_fmac_f32_e32 v38, 0xbf737871, v48
	v_fmac_f32_e32 v80, v104, v54
	v_mul_f32_e32 v25, v109, v53
	v_fmac_f32_e32 v45, 0x3e9e377a, v4
	v_fmac_f32_e32 v41, 0x3e9e377a, v4
	v_fma_f32 v42, -0.5, v42, v5
	v_fmac_f32_e32 v40, 0x3f167918, v50
	v_add_f32_e32 v4, v46, v47
	v_fmac_f32_e32 v38, 0xbf167918, v50
	v_add_f32_e32 v53, v6, v75
	v_fmac_f32_e32 v25, v108, v52
	v_mul_f32_e32 v27, v113, v57
	v_fmamk_f32 v46, v50, 0xbf737871, v42
	v_sub_f32_e32 v5, v73, v72
	v_sub_f32_e32 v47, v76, v77
	v_fmac_f32_e32 v40, 0x3e9e377a, v4
	v_add_f32_e32 v52, v79, v80
	v_fmac_f32_e32 v38, 0x3e9e377a, v4
	v_fmac_f32_e32 v42, 0x3f737871, v50
	v_add_f32_e32 v4, v53, v79
	v_fmac_f32_e32 v27, v112, v56
	v_fmac_f32_e32 v46, 0x3f167918, v48
	v_add_f32_e32 v5, v5, v47
	v_fma_f32 v47, -0.5, v52, v6
	v_sub_f32_e32 v55, v78, v83
	v_sub_f32_e32 v52, v75, v79
	;; [unrolled: 1-line block ×3, first 2 shown]
	v_add_f32_e32 v56, v75, v51
	v_fmac_f32_e32 v42, 0xbf167918, v48
	v_add_f32_e32 v4, v4, v80
	v_fmac_f32_e32 v46, 0x3e9e377a, v5
	v_fmamk_f32 v50, v55, 0xbf737871, v47
	v_sub_f32_e32 v53, v81, v82
	v_add_f32_e32 v57, v52, v54
	v_fma_f32 v6, -0.5, v56, v6
	v_fmac_f32_e32 v42, 0x3e9e377a, v5
	v_add_f32_e32 v52, v4, v51
	v_fmac_f32_e32 v47, 0x3f737871, v55
	v_sub_f32_e32 v4, v79, v75
	v_sub_f32_e32 v5, v80, v51
	v_add_f32_e32 v48, v7, v78
	v_fmac_f32_e32 v50, 0xbf167918, v53
	v_fmamk_f32 v54, v53, 0x3f737871, v6
	v_fmac_f32_e32 v47, 0x3f167918, v53
	v_add_f32_e32 v56, v81, v82
	v_add_f32_e32 v4, v4, v5
	v_fmac_f32_e32 v6, 0xbf737871, v53
	v_add_f32_e32 v5, v48, v81
	v_fmac_f32_e32 v50, 0x3e9e377a, v57
	v_fmac_f32_e32 v54, 0xbf167918, v55
	v_fma_f32 v48, -0.5, v56, v7
	v_sub_f32_e32 v58, v75, v51
	v_fmac_f32_e32 v47, 0x3e9e377a, v57
	v_fmac_f32_e32 v6, 0x3f167918, v55
	v_add_f32_e32 v5, v5, v82
	v_add_f32_e32 v53, v78, v83
	v_sub_f32_e32 v55, v78, v81
	v_sub_f32_e32 v57, v83, v82
	v_fmac_f32_e32 v54, 0x3e9e377a, v4
	v_fmamk_f32 v51, v58, 0x3f737871, v48
	v_sub_f32_e32 v56, v79, v80
	v_fmac_f32_e32 v6, 0x3e9e377a, v4
	v_fmac_f32_e32 v7, -0.5, v53
	v_add_f32_e32 v53, v5, v83
	v_add_f32_e32 v4, v55, v57
	v_fmac_f32_e32 v48, 0xbf737871, v58
	v_sub_f32_e32 v5, v81, v78
	v_sub_f32_e32 v57, v82, v83
	v_add_f32_e32 v59, v24, v27
	v_fmac_f32_e32 v51, 0x3f167918, v56
	v_fmamk_f32 v55, v56, 0xbf737871, v7
	v_fmac_f32_e32 v48, 0xbf167918, v56
	v_add_f32_e32 v5, v5, v57
	v_fmac_f32_e32 v7, 0x3f737871, v56
	v_add_f32_e32 v57, v0, v25
	v_fma_f32 v56, -0.5, v59, v0
	v_sub_f32_e32 v59, v22, v28
	v_fmac_f32_e32 v51, 0x3e9e377a, v4
	v_fmac_f32_e32 v55, 0x3f167918, v58
	v_fmac_f32_e32 v48, 0x3e9e377a, v4
	v_fmac_f32_e32 v7, 0xbf167918, v58
	v_add_f32_e32 v4, v57, v24
	v_fmamk_f32 v58, v59, 0xbf737871, v56
	v_sub_f32_e32 v57, v23, v26
	v_sub_f32_e32 v60, v25, v24
	;; [unrolled: 1-line block ×3, first 2 shown]
	v_fmac_f32_e32 v56, 0x3f737871, v59
	v_add_f32_e32 v62, v25, v84
	v_fmac_f32_e32 v58, 0xbf167918, v57
	v_add_f32_e32 v4, v4, v27
	v_add_f32_e32 v61, v60, v61
	v_fmac_f32_e32 v56, 0x3f167918, v57
	v_fma_f32 v0, -0.5, v62, v0
	v_fmac_f32_e32 v55, 0x3e9e377a, v5
	v_fmac_f32_e32 v7, 0x3e9e377a, v5
	;; [unrolled: 1-line block ×4, first 2 shown]
	v_sub_f32_e32 v5, v24, v25
	v_sub_f32_e32 v61, v27, v84
	v_add_f32_e32 v60, v4, v84
	v_fmamk_f32 v62, v57, 0x3f737871, v0
	v_add_f32_e32 v4, v23, v26
	v_fmac_f32_e32 v0, 0xbf737871, v57
	v_add_f32_e32 v63, v1, v22
	v_add_f32_e32 v5, v5, v61
	;; [unrolled: 1-line block ×3, first 2 shown]
	v_fma_f32 v57, -0.5, v4, v1
	v_sub_f32_e32 v4, v25, v84
	v_fmac_f32_e32 v62, 0xbf167918, v59
	v_fmac_f32_e32 v0, 0x3f167918, v59
	v_add_f32_e32 v25, v63, v23
	v_sub_f32_e32 v24, v24, v27
	v_fmac_f32_e32 v1, -0.5, v61
	v_fmac_f32_e32 v62, 0x3e9e377a, v5
	v_fmac_f32_e32 v0, 0x3e9e377a, v5
	v_add_f32_e32 v5, v25, v26
	v_add_f32_e32 v34, v34, v68
	v_fmamk_f32 v63, v24, 0xbf737871, v1
	v_fmac_f32_e32 v1, 0x3f737871, v24
	v_fmamk_f32 v59, v4, 0x3f737871, v57
	v_sub_f32_e32 v25, v22, v23
	v_sub_f32_e32 v27, v28, v26
	;; [unrolled: 1-line block ×4, first 2 shown]
	v_add_f32_e32 v61, v5, v28
	v_add_nc_u32_e32 v5, 0x600, v209
	v_fmac_f32_e32 v57, 0xbf737871, v4
	v_add_f32_e32 v44, v44, v76
	v_fmac_f32_e32 v63, 0x3f167918, v4
	v_fmac_f32_e32 v1, 0xbf167918, v4
	v_add_nc_u32_e32 v4, 0xc00, v209
	ds_write2_b64 v209, v[16:17], v[33:34] offset1:39
	v_add_nc_u32_e32 v16, 0x1200, v209
	v_fmac_f32_e32 v59, 0x3f167918, v24
	v_add_f32_e32 v25, v25, v27
	v_add_f32_e32 v22, v22, v23
	ds_write2_b64 v5, v[31:32], v[14:15] offset0:42 offset1:198
	v_add_nc_u32_e32 v5, 0x600, v127
	v_fmac_f32_e32 v57, 0xbf167918, v24
	v_add_nc_u32_e32 v14, 0x1200, v127
	v_add_f32_e32 v44, v44, v77
	ds_write2_b64 v4, v[35:36], v[8:9] offset0:45 offset1:201
	ds_write2_b64 v16, v[10:11], v[12:13] offset0:48 offset1:204
	ds_write_b64 v209, v[29:30] offset:6552
	ds_write2_b64 v5, v[39:40], v[45:46] offset0:3 offset1:198
	ds_write2_b64 v14, v[41:42], v[37:38] offset0:9 offset1:204
	v_add_nc_u32_e32 v5, 0x600, v126
	v_add_nc_u32_e32 v8, 0x1200, v126
	v_fmac_f32_e32 v59, 0x3e9e377a, v25
	v_fmac_f32_e32 v63, 0x3e9e377a, v22
	v_add_nc_u32_e32 v9, 0x600, v49
	v_fmac_f32_e32 v57, 0x3e9e377a, v25
	v_fmac_f32_e32 v1, 0x3e9e377a, v22
	v_add_nc_u32_e32 v10, 0x1200, v49
	ds_write2_b64 v209, v[43:44], v[52:53] offset0:78 offset1:117
	ds_write2_b64 v5, v[50:51], v[54:55] offset0:3 offset1:198
	;; [unrolled: 1-line block ×6, first 2 shown]
	s_waitcnt lgkmcnt(0)
	s_barrier
	buffer_gl0_inv
	ds_read2_b64 v[0:3], v209 offset1:75
	v_mad_u64_u32 v[11:12], null, s10, v182, 0
	v_mad_u64_u32 v[22:23], null, s8, v187, 0
	s_waitcnt lgkmcnt(0)
	v_mul_f32_e32 v5, v202, v1
	v_mul_f32_e32 v6, v202, v0
	;; [unrolled: 1-line block ×4, first 2 shown]
	v_fmac_f32_e32 v5, v201, v0
	v_fma_f32 v6, v201, v1, -v6
	v_fma_f32 v3, v195, v3, -v15
	v_fmac_f32_e32 v13, v195, v2
	v_mov_b32_e32 v2, v12
	v_cvt_f64_f32_e32 v[0:1], v5
	v_cvt_f64_f32_e32 v[9:10], v6
	ds_read2_b64 v[5:8], v209 offset0:150 offset1:225
	s_clause 0x1
	buffer_load_dword v26, off, s[16:19], 0 offset:64
	buffer_load_dword v27, off, s[16:19], 0 offset:68
	v_cvt_f64_f32_e32 v[24:25], v3
	v_cvt_f64_f32_e32 v[13:14], v13
	v_mul_f64 v[15:16], v[0:1], s[2:3]
	v_mul_f64 v[9:10], v[9:10], s[2:3]
	;; [unrolled: 1-line block ×4, first 2 shown]
	v_cvt_f32_f64_e32 v15, v[15:16]
	v_cvt_f32_f64_e32 v16, v[9:10]
	;; [unrolled: 1-line block ×4, first 2 shown]
	s_waitcnt vmcnt(0) lgkmcnt(0)
	v_mul_f32_e32 v3, v27, v6
	v_mul_f32_e32 v12, v27, v5
	v_mad_u64_u32 v[0:1], null, s11, v182, v[2:3]
	v_fmac_f32_e32 v3, v26, v5
	v_fma_f32 v2, v26, v6, -v12
	v_mov_b32_e32 v1, v23
	v_cvt_f64_f32_e32 v[5:6], v3
	v_cvt_f64_f32_e32 v[26:27], v2
	v_mov_b32_e32 v12, v0
	v_mad_u64_u32 v[28:29], null, s9, v187, v[1:2]
	ds_read2_b64 v[0:3], v20 offset0:44 offset1:119
	s_clause 0x1
	buffer_load_dword v31, off, s[16:19], 0 offset:56
	buffer_load_dword v32, off, s[16:19], 0 offset:60
	v_lshlrev_b64 v[11:12], 3, v[11:12]
	v_mov_b32_e32 v23, v28
	v_add_co_u32 v17, s0, s6, v11
	v_add_co_ci_u32_e64 v30, s0, s7, v12, s0
	v_lshlrev_b64 v[9:10], 3, v[22:23]
	s_mul_i32 s0, s9, 0x4b
	s_add_i32 s5, s1, s0
	v_mul_f64 v[11:12], v[5:6], s[2:3]
	v_mul_f64 v[22:23], v[26:27], s[2:3]
	v_add_co_u32 v9, s0, v17, v9
	s_waitcnt lgkmcnt(0)
	v_mul_f32_e32 v6, v204, v1
	v_add_co_ci_u32_e64 v10, s0, v30, v10, s0
	s_lshl_b64 s[4:5], s[4:5], 3
	v_mul_f32_e32 v17, v200, v3
	v_fmac_f32_e32 v6, v203, v0
	v_fmac_f32_e32 v17, v199, v2
	v_cvt_f32_f64_e32 v11, v[11:12]
	v_cvt_f32_f64_e32 v12, v[22:23]
	v_add_co_u32 v22, s0, v9, s4
	v_add_co_ci_u32_e64 v23, s0, s5, v10, s0
	s_waitcnt vmcnt(0)
	v_mul_f32_e32 v28, v32, v8
	v_mul_f32_e32 v29, v32, v7
	v_fmac_f32_e32 v28, v31, v7
	v_fma_f32 v5, v31, v8, -v29
	v_mul_f32_e32 v7, v204, v0
	v_cvt_f64_f32_e32 v[26:27], v28
	v_cvt_f64_f32_e32 v[28:29], v5
	v_fma_f32 v5, v203, v1, -v7
	v_cvt_f64_f32_e32 v[0:1], v6
	v_cvt_f64_f32_e32 v[24:25], v5
	ds_read2_b64 v[5:8], v4 offset0:66 offset1:141
	global_store_dwordx2 v[9:10], v[15:16], off
	global_store_dwordx2 v[22:23], v[13:14], off
	v_add_co_u32 v15, s0, v22, s4
	v_add_co_ci_u32_e64 v16, s0, s5, v23, s0
	v_cvt_f64_f32_e32 v[22:23], v17
	global_store_dwordx2 v[15:16], v[11:12], off
	v_add_nc_u32_e32 v11, 0x1400, v209
	v_add_co_u32 v15, s0, v15, s4
	v_add_co_ci_u32_e64 v16, s0, s5, v16, s0
	v_mul_f64 v[26:27], v[26:27], s[2:3]
	v_mul_f64 v[28:29], v[28:29], s[2:3]
	;; [unrolled: 1-line block ×3, first 2 shown]
	v_mul_f32_e32 v0, v200, v2
	s_waitcnt lgkmcnt(0)
	v_mul_f32_e32 v1, v198, v6
	v_mul_f32_e32 v2, v198, v5
	v_mul_f64 v[13:14], v[24:25], s[2:3]
	v_fma_f32 v0, v199, v3, -v0
	v_fmac_f32_e32 v1, v197, v5
	v_fma_f32 v2, v197, v6, -v2
	v_cvt_f64_f32_e32 v[5:6], v0
	v_mul_f64 v[22:23], v[22:23], s[2:3]
	v_cvt_f64_f32_e32 v[30:31], v2
	v_cvt_f32_f64_e32 v24, v[26:27]
	v_cvt_f64_f32_e32 v[26:27], v1
	v_cvt_f32_f64_e32 v25, v[28:29]
	ds_read2_b64 v[0:3], v19 offset0:88 offset1:163
	v_cvt_f32_f64_e32 v28, v[9:10]
	ds_read2_b64 v[9:12], v11 offset0:110 offset1:185
	s_clause 0x1
	buffer_load_dword v33, off, s[16:19], 0 offset:48
	buffer_load_dword v34, off, s[16:19], 0 offset:52
	v_cvt_f32_f64_e32 v29, v[13:14]
	v_add_co_u32 v13, s0, v15, s4
	v_add_co_ci_u32_e64 v14, s0, s5, v16, s0
	v_mul_f64 v[5:6], v[5:6], s[2:3]
	s_waitcnt vmcnt(0)
	v_mul_f32_e32 v17, v34, v8
	v_mul_f32_e32 v32, v34, v7
	v_fmac_f32_e32 v17, v33, v7
	v_fma_f32 v34, v33, v8, -v32
	ds_read_b64 v[32:33], v209 offset:7200
	s_clause 0x5
	buffer_load_dword v41, off, s[16:19], 0 offset:24
	buffer_load_dword v42, off, s[16:19], 0 offset:28
	;; [unrolled: 1-line block ×6, first 2 shown]
	v_mul_f64 v[7:8], v[26:27], s[2:3]
	v_mul_f64 v[26:27], v[30:31], s[2:3]
	v_cvt_f64_f32_e32 v[30:31], v17
	v_cvt_f64_f32_e32 v[34:35], v34
	v_cvt_f32_f64_e32 v7, v[7:8]
	v_cvt_f32_f64_e32 v8, v[26:27]
	s_waitcnt vmcnt(4) lgkmcnt(2)
	v_mul_f32_e32 v17, v42, v1
	s_waitcnt vmcnt(2)
	v_mul_f32_e32 v37, v40, v3
	v_mul_f32_e32 v38, v40, v2
	s_waitcnt vmcnt(0) lgkmcnt(1)
	v_mul_f32_e32 v40, v46, v10
	v_mul_f32_e32 v36, v42, v0
	v_fmac_f32_e32 v17, v41, v0
	v_fmac_f32_e32 v37, v39, v2
	v_fma_f32 v38, v39, v3, -v38
	v_fmac_f32_e32 v40, v45, v9
	v_mul_f32_e32 v9, v46, v9
	s_clause 0x1
	buffer_load_dword v46, off, s[16:19], 0 offset:32
	buffer_load_dword v47, off, s[16:19], 0 offset:36
	v_fma_f32 v36, v41, v1, -v36
	v_cvt_f64_f32_e32 v[0:1], v17
	v_cvt_f64_f32_e32 v[38:39], v38
	v_fma_f32 v9, v45, v10, -v9
	v_cvt_f64_f32_e32 v[40:41], v40
	v_cvt_f64_f32_e32 v[2:3], v36
	v_cvt_f64_f32_e32 v[36:37], v37
	v_cvt_f64_f32_e32 v[9:10], v9
	v_mul_f64 v[0:1], v[0:1], s[2:3]
	v_mul_f64 v[26:27], v[38:39], s[2:3]
	;; [unrolled: 1-line block ×4, first 2 shown]
	v_cvt_f32_f64_e32 v38, v[0:1]
	v_cvt_f32_f64_e32 v39, v[2:3]
	s_waitcnt vmcnt(0)
	v_mul_f32_e32 v17, v47, v12
	v_mul_f32_e32 v42, v47, v11
	s_clause 0x1
	buffer_load_dword v47, off, s[16:19], 0 offset:40
	buffer_load_dword v48, off, s[16:19], 0 offset:44
	global_store_dwordx2 v[15:16], v[24:25], off
	global_store_dwordx2 v[13:14], v[28:29], off
	v_cvt_f32_f64_e32 v15, v[22:23]
	v_fmac_f32_e32 v17, v46, v11
	v_fma_f32 v42, v46, v12, -v42
	v_cvt_f32_f64_e32 v16, v[5:6]
	v_mul_f64 v[5:6], v[30:31], s[2:3]
	v_mul_f64 v[22:23], v[34:35], s[2:3]
	v_cvt_f64_f32_e32 v[11:12], v17
	v_mul_f64 v[24:25], v[36:37], s[2:3]
	v_mul_f64 v[28:29], v[40:41], s[2:3]
	v_add_co_u32 v13, s0, v13, s4
	v_add_co_ci_u32_e64 v14, s0, s5, v14, s0
	v_add_co_u32 v36, s0, v13, s4
	v_add_co_ci_u32_e64 v37, s0, s5, v14, s0
	global_store_dwordx2 v[13:14], v[15:16], off
	v_cvt_f32_f64_e32 v5, v[5:6]
	v_cvt_f32_f64_e32 v6, v[22:23]
	v_mul_f64 v[11:12], v[11:12], s[2:3]
	v_add_co_u32 v22, s0, v36, s4
	v_add_co_ci_u32_e64 v23, s0, s5, v37, s0
	v_cvt_f32_f64_e32 v24, v[24:25]
	v_add_co_u32 v2, s0, v22, s4
	v_add_co_ci_u32_e64 v3, s0, s5, v23, s0
	v_cvt_f32_f64_e32 v25, v[26:27]
	v_cvt_f32_f64_e32 v26, v[28:29]
	v_add_co_u32 v28, s0, v2, s4
	v_cvt_f32_f64_e32 v27, v[9:10]
	v_add_co_ci_u32_e64 v29, s0, s5, v3, s0
	v_add_co_u32 v13, s0, v28, s4
	global_store_dwordx2 v[36:37], v[7:8], off
	v_add_co_ci_u32_e64 v14, s0, s5, v29, s0
	v_cvt_f32_f64_e32 v9, v[11:12]
	v_add_co_u32 v7, s0, v13, s4
	v_add_co_ci_u32_e64 v8, s0, s5, v14, s0
	global_store_dwordx2 v[22:23], v[5:6], off
	v_add_co_u32 v0, s0, v7, s4
	v_add_co_ci_u32_e64 v1, s0, s5, v8, s0
	s_waitcnt vmcnt(0) lgkmcnt(0)
	v_mul_f32_e32 v43, v48, v33
	v_mul_f32_e32 v44, v48, v32
	v_fmac_f32_e32 v43, v47, v32
	v_fma_f32 v44, v47, v33, -v44
	v_cvt_f64_f32_e32 v[32:33], v42
	v_cvt_f64_f32_e32 v[42:43], v43
	;; [unrolled: 1-line block ×3, first 2 shown]
	v_mul_f64 v[30:31], v[32:33], s[2:3]
	v_mul_f64 v[32:33], v[42:43], s[2:3]
	;; [unrolled: 1-line block ×3, first 2 shown]
	v_cvt_f32_f64_e32 v10, v[30:31]
	v_cvt_f32_f64_e32 v11, v[32:33]
	;; [unrolled: 1-line block ×3, first 2 shown]
	global_store_dwordx2 v[2:3], v[38:39], off
	global_store_dwordx2 v[28:29], v[24:25], off
	;; [unrolled: 1-line block ×5, first 2 shown]
	s_and_b32 exec_lo, exec_lo, vcc_lo
	s_cbranch_execz .LBB0_23
; %bb.22:
	global_load_dwordx2 v[2:3], v[174:175], off offset:312
	ds_read2_b64 v[5:8], v209 offset0:39 offset1:114
	v_mad_u64_u32 v[0:1], null, 0xffffe518, s8, v[0:1]
	s_mul_i32 s0, s9, 0xffffe518
	s_sub_i32 s0, s0, s8
	v_add_nc_u32_e32 v1, s0, v1
	s_waitcnt vmcnt(0) lgkmcnt(0)
	v_mul_f32_e32 v9, v6, v3
	v_mul_f32_e32 v3, v5, v3
	v_fmac_f32_e32 v9, v5, v2
	v_fma_f32 v5, v2, v6, -v3
	v_cvt_f64_f32_e32 v[2:3], v9
	v_cvt_f64_f32_e32 v[5:6], v5
	v_mul_f64 v[2:3], v[2:3], s[2:3]
	v_mul_f64 v[5:6], v[5:6], s[2:3]
	v_cvt_f32_f64_e32 v2, v[2:3]
	v_cvt_f32_f64_e32 v3, v[5:6]
	global_store_dwordx2 v[0:1], v[2:3], off
	global_load_dwordx2 v[2:3], v[174:175], off offset:912
	s_waitcnt vmcnt(0)
	v_mul_f32_e32 v5, v8, v3
	v_mul_f32_e32 v3, v7, v3
	v_fmac_f32_e32 v5, v7, v2
	v_fma_f32 v6, v2, v8, -v3
	v_cvt_f64_f32_e32 v[2:3], v5
	v_cvt_f64_f32_e32 v[5:6], v6
	v_mul_f64 v[2:3], v[2:3], s[2:3]
	v_mul_f64 v[5:6], v[5:6], s[2:3]
	v_cvt_f32_f64_e32 v2, v[2:3]
	v_cvt_f32_f64_e32 v3, v[5:6]
	v_add_co_u32 v5, vcc_lo, v0, s4
	v_add_co_ci_u32_e32 v6, vcc_lo, s5, v1, vcc_lo
	global_store_dwordx2 v[5:6], v[2:3], off
	global_load_dwordx2 v[7:8], v[174:175], off offset:1512
	ds_read2_b64 v[0:3], v21 offset0:61 offset1:136
	v_add_co_u32 v5, vcc_lo, v5, s4
	v_add_co_ci_u32_e32 v6, vcc_lo, s5, v6, vcc_lo
	s_waitcnt vmcnt(0) lgkmcnt(0)
	v_mul_f32_e32 v9, v1, v8
	v_mul_f32_e32 v8, v0, v8
	v_fmac_f32_e32 v9, v0, v7
	v_fma_f32 v7, v7, v1, -v8
	v_cvt_f64_f32_e32 v[0:1], v9
	v_cvt_f64_f32_e32 v[7:8], v7
	v_mul_f64 v[0:1], v[0:1], s[2:3]
	v_mul_f64 v[7:8], v[7:8], s[2:3]
	v_cvt_f32_f64_e32 v0, v[0:1]
	v_cvt_f32_f64_e32 v1, v[7:8]
	global_store_dwordx2 v[5:6], v[0:1], off
	global_load_dwordx2 v[0:1], v[172:173], off offset:64
	v_add_co_u32 v5, vcc_lo, v5, s4
	v_add_co_ci_u32_e32 v6, vcc_lo, s5, v6, vcc_lo
	s_waitcnt vmcnt(0)
	v_mul_f32_e32 v7, v3, v1
	v_mul_f32_e32 v1, v2, v1
	v_fmac_f32_e32 v7, v2, v0
	v_fma_f32 v2, v0, v3, -v1
	v_cvt_f64_f32_e32 v[0:1], v7
	v_cvt_f64_f32_e32 v[2:3], v2
	v_mul_f64 v[0:1], v[0:1], s[2:3]
	v_mul_f64 v[2:3], v[2:3], s[2:3]
	v_cvt_f32_f64_e32 v0, v[0:1]
	v_cvt_f32_f64_e32 v1, v[2:3]
	global_store_dwordx2 v[5:6], v[0:1], off
	global_load_dwordx2 v[7:8], v[172:173], off offset:664
	ds_read2_b64 v[0:3], v20 offset0:83 offset1:158
	v_add_co_u32 v5, vcc_lo, v5, s4
	v_add_co_ci_u32_e32 v6, vcc_lo, s5, v6, vcc_lo
	s_waitcnt vmcnt(0) lgkmcnt(0)
	v_mul_f32_e32 v9, v1, v8
	v_mul_f32_e32 v8, v0, v8
	v_fmac_f32_e32 v9, v0, v7
	v_fma_f32 v7, v7, v1, -v8
	v_cvt_f64_f32_e32 v[0:1], v9
	v_cvt_f64_f32_e32 v[7:8], v7
	v_mul_f64 v[0:1], v[0:1], s[2:3]
	v_mul_f64 v[7:8], v[7:8], s[2:3]
	v_cvt_f32_f64_e32 v0, v[0:1]
	v_cvt_f32_f64_e32 v1, v[7:8]
	global_store_dwordx2 v[5:6], v[0:1], off
	global_load_dwordx2 v[0:1], v[172:173], off offset:1264
	v_add_co_u32 v5, vcc_lo, v5, s4
	v_add_co_ci_u32_e32 v6, vcc_lo, s5, v6, vcc_lo
	s_waitcnt vmcnt(0)
	v_mul_f32_e32 v7, v3, v1
	v_mul_f32_e32 v1, v2, v1
	v_fmac_f32_e32 v7, v2, v0
	v_fma_f32 v2, v0, v3, -v1
	v_cvt_f64_f32_e32 v[0:1], v7
	v_cvt_f64_f32_e32 v[2:3], v2
	v_mul_f64 v[0:1], v[0:1], s[2:3]
	v_mul_f64 v[2:3], v[2:3], s[2:3]
	v_cvt_f32_f64_e32 v0, v[0:1]
	v_cvt_f32_f64_e32 v1, v[2:3]
	global_store_dwordx2 v[5:6], v[0:1], off
	global_load_dwordx2 v[7:8], v[172:173], off offset:1864
	ds_read2_b64 v[0:3], v4 offset0:105 offset1:180
	s_waitcnt vmcnt(0) lgkmcnt(0)
	v_mul_f32_e32 v4, v1, v8
	v_mul_f32_e32 v8, v0, v8
	v_fmac_f32_e32 v4, v0, v7
	v_fma_f32 v7, v7, v1, -v8
	v_cvt_f64_f32_e32 v[0:1], v4
	v_cvt_f64_f32_e32 v[7:8], v7
	v_add_co_u32 v4, vcc_lo, v5, s4
	v_add_co_ci_u32_e32 v5, vcc_lo, s5, v6, vcc_lo
	v_mul_f64 v[0:1], v[0:1], s[2:3]
	v_mul_f64 v[7:8], v[7:8], s[2:3]
	v_cvt_f32_f64_e32 v0, v[0:1]
	v_cvt_f32_f64_e32 v1, v[7:8]
	global_store_dwordx2 v[4:5], v[0:1], off
	global_load_dwordx2 v[0:1], v[170:171], off offset:416
	v_add_co_u32 v4, vcc_lo, v4, s4
	v_add_co_ci_u32_e32 v5, vcc_lo, s5, v5, vcc_lo
	s_waitcnt vmcnt(0)
	v_mul_f32_e32 v6, v3, v1
	v_mul_f32_e32 v1, v2, v1
	v_fmac_f32_e32 v6, v2, v0
	v_fma_f32 v2, v0, v3, -v1
	v_cvt_f64_f32_e32 v[0:1], v6
	v_cvt_f64_f32_e32 v[2:3], v2
	v_mul_f64 v[0:1], v[0:1], s[2:3]
	v_mul_f64 v[2:3], v[2:3], s[2:3]
	v_cvt_f32_f64_e32 v0, v[0:1]
	v_cvt_f32_f64_e32 v1, v[2:3]
	global_store_dwordx2 v[4:5], v[0:1], off
	global_load_dwordx2 v[6:7], v[170:171], off offset:1016
	ds_read2_b64 v[0:3], v19 offset0:127 offset1:202
	v_add_co_u32 v4, vcc_lo, v4, s4
	v_add_co_ci_u32_e32 v5, vcc_lo, s5, v5, vcc_lo
	s_waitcnt vmcnt(0) lgkmcnt(0)
	v_mul_f32_e32 v8, v1, v7
	v_mul_f32_e32 v7, v0, v7
	v_fmac_f32_e32 v8, v0, v6
	v_fma_f32 v6, v6, v1, -v7
	v_cvt_f64_f32_e32 v[0:1], v8
	v_cvt_f64_f32_e32 v[6:7], v6
	v_mul_f64 v[0:1], v[0:1], s[2:3]
	v_mul_f64 v[6:7], v[6:7], s[2:3]
	v_cvt_f32_f64_e32 v0, v[0:1]
	v_cvt_f32_f64_e32 v1, v[6:7]
	global_store_dwordx2 v[4:5], v[0:1], off
	global_load_dwordx2 v[0:1], v[170:171], off offset:1616
	v_add_co_u32 v4, vcc_lo, v4, s4
	v_add_co_ci_u32_e32 v5, vcc_lo, s5, v5, vcc_lo
	s_waitcnt vmcnt(0)
	v_mul_f32_e32 v6, v3, v1
	v_mul_f32_e32 v1, v2, v1
	v_fmac_f32_e32 v6, v2, v0
	v_fma_f32 v2, v0, v3, -v1
	v_cvt_f64_f32_e32 v[0:1], v6
	v_cvt_f64_f32_e32 v[2:3], v2
	v_mul_f64 v[0:1], v[0:1], s[2:3]
	v_mul_f64 v[2:3], v[2:3], s[2:3]
	v_cvt_f32_f64_e32 v0, v[0:1]
	v_cvt_f32_f64_e32 v1, v[2:3]
	global_store_dwordx2 v[4:5], v[0:1], off
	s_clause 0x1
	buffer_load_dword v9, off, s[16:19], 0
	buffer_load_dword v10, off, s[16:19], 0 offset:4
	ds_read2_b64 v[0:3], v18 offset0:21 offset1:96
	v_add_co_u32 v4, vcc_lo, v4, s4
	v_add_co_ci_u32_e32 v5, vcc_lo, s5, v5, vcc_lo
	s_waitcnt vmcnt(0)
	global_load_dwordx2 v[6:7], v[9:10], off offset:168
	s_waitcnt vmcnt(0) lgkmcnt(0)
	v_mul_f32_e32 v8, v1, v7
	v_mul_f32_e32 v7, v0, v7
	v_fmac_f32_e32 v8, v0, v6
	v_fma_f32 v6, v6, v1, -v7
	v_cvt_f64_f32_e32 v[0:1], v8
	v_cvt_f64_f32_e32 v[6:7], v6
	v_mul_f64 v[0:1], v[0:1], s[2:3]
	v_mul_f64 v[6:7], v[6:7], s[2:3]
	v_cvt_f32_f64_e32 v0, v[0:1]
	v_cvt_f32_f64_e32 v1, v[6:7]
	global_store_dwordx2 v[4:5], v[0:1], off
	global_load_dwordx2 v[0:1], v[9:10], off offset:768
	s_waitcnt vmcnt(0)
	v_mul_f32_e32 v6, v3, v1
	v_mul_f32_e32 v1, v2, v1
	v_fmac_f32_e32 v6, v2, v0
	v_fma_f32 v2, v0, v3, -v1
	v_cvt_f64_f32_e32 v[0:1], v6
	v_cvt_f64_f32_e32 v[2:3], v2
	v_mul_f64 v[0:1], v[0:1], s[2:3]
	v_mul_f64 v[2:3], v[2:3], s[2:3]
	v_cvt_f32_f64_e32 v0, v[0:1]
	v_cvt_f32_f64_e32 v1, v[2:3]
	v_add_co_u32 v2, vcc_lo, v4, s4
	v_add_co_ci_u32_e32 v3, vcc_lo, s5, v5, vcc_lo
	ds_read_b64 v[4:5], v209 offset:7512
	global_store_dwordx2 v[2:3], v[0:1], off
	global_load_dwordx2 v[0:1], v[9:10], off offset:1368
	v_add_co_u32 v2, vcc_lo, v2, s4
	v_add_co_ci_u32_e32 v3, vcc_lo, s5, v3, vcc_lo
	s_waitcnt vmcnt(0) lgkmcnt(0)
	v_mul_f32_e32 v6, v5, v1
	v_mul_f32_e32 v1, v4, v1
	v_fmac_f32_e32 v6, v4, v0
	v_fma_f32 v4, v0, v5, -v1
	v_cvt_f64_f32_e32 v[0:1], v6
	v_cvt_f64_f32_e32 v[4:5], v4
	v_mul_f64 v[0:1], v[0:1], s[2:3]
	v_mul_f64 v[4:5], v[4:5], s[2:3]
	v_cvt_f32_f64_e32 v0, v[0:1]
	v_cvt_f32_f64_e32 v1, v[4:5]
	global_store_dwordx2 v[2:3], v[0:1], off
.LBB0_23:
	s_endpgm
	.section	.rodata,"a",@progbits
	.p2align	6, 0x0
	.amdhsa_kernel bluestein_single_back_len975_dim1_sp_op_CI_CI
		.amdhsa_group_segment_fixed_size 23400
		.amdhsa_private_segment_fixed_size 128
		.amdhsa_kernarg_size 104
		.amdhsa_user_sgpr_count 6
		.amdhsa_user_sgpr_private_segment_buffer 1
		.amdhsa_user_sgpr_dispatch_ptr 0
		.amdhsa_user_sgpr_queue_ptr 0
		.amdhsa_user_sgpr_kernarg_segment_ptr 1
		.amdhsa_user_sgpr_dispatch_id 0
		.amdhsa_user_sgpr_flat_scratch_init 0
		.amdhsa_user_sgpr_private_segment_size 0
		.amdhsa_wavefront_size32 1
		.amdhsa_uses_dynamic_stack 0
		.amdhsa_system_sgpr_private_segment_wavefront_offset 1
		.amdhsa_system_sgpr_workgroup_id_x 1
		.amdhsa_system_sgpr_workgroup_id_y 0
		.amdhsa_system_sgpr_workgroup_id_z 0
		.amdhsa_system_sgpr_workgroup_info 0
		.amdhsa_system_vgpr_workitem_id 0
		.amdhsa_next_free_vgpr 256
		.amdhsa_next_free_sgpr 20
		.amdhsa_reserve_vcc 1
		.amdhsa_reserve_flat_scratch 0
		.amdhsa_float_round_mode_32 0
		.amdhsa_float_round_mode_16_64 0
		.amdhsa_float_denorm_mode_32 3
		.amdhsa_float_denorm_mode_16_64 3
		.amdhsa_dx10_clamp 1
		.amdhsa_ieee_mode 1
		.amdhsa_fp16_overflow 0
		.amdhsa_workgroup_processor_mode 1
		.amdhsa_memory_ordered 1
		.amdhsa_forward_progress 0
		.amdhsa_shared_vgpr_count 0
		.amdhsa_exception_fp_ieee_invalid_op 0
		.amdhsa_exception_fp_denorm_src 0
		.amdhsa_exception_fp_ieee_div_zero 0
		.amdhsa_exception_fp_ieee_overflow 0
		.amdhsa_exception_fp_ieee_underflow 0
		.amdhsa_exception_fp_ieee_inexact 0
		.amdhsa_exception_int_div_zero 0
	.end_amdhsa_kernel
	.text
.Lfunc_end0:
	.size	bluestein_single_back_len975_dim1_sp_op_CI_CI, .Lfunc_end0-bluestein_single_back_len975_dim1_sp_op_CI_CI
                                        ; -- End function
	.section	.AMDGPU.csdata,"",@progbits
; Kernel info:
; codeLenInByte = 31928
; NumSgprs: 22
; NumVgprs: 256
; ScratchSize: 128
; MemoryBound: 0
; FloatMode: 240
; IeeeMode: 1
; LDSByteSize: 23400 bytes/workgroup (compile time only)
; SGPRBlocks: 2
; VGPRBlocks: 31
; NumSGPRsForWavesPerEU: 22
; NumVGPRsForWavesPerEU: 256
; Occupancy: 4
; WaveLimiterHint : 1
; COMPUTE_PGM_RSRC2:SCRATCH_EN: 1
; COMPUTE_PGM_RSRC2:USER_SGPR: 6
; COMPUTE_PGM_RSRC2:TRAP_HANDLER: 0
; COMPUTE_PGM_RSRC2:TGID_X_EN: 1
; COMPUTE_PGM_RSRC2:TGID_Y_EN: 0
; COMPUTE_PGM_RSRC2:TGID_Z_EN: 0
; COMPUTE_PGM_RSRC2:TIDIG_COMP_CNT: 0
	.text
	.p2alignl 6, 3214868480
	.fill 48, 4, 3214868480
	.type	__hip_cuid_e18558a6e7fbdabe,@object ; @__hip_cuid_e18558a6e7fbdabe
	.section	.bss,"aw",@nobits
	.globl	__hip_cuid_e18558a6e7fbdabe
__hip_cuid_e18558a6e7fbdabe:
	.byte	0                               ; 0x0
	.size	__hip_cuid_e18558a6e7fbdabe, 1

	.ident	"AMD clang version 19.0.0git (https://github.com/RadeonOpenCompute/llvm-project roc-6.4.0 25133 c7fe45cf4b819c5991fe208aaa96edf142730f1d)"
	.section	".note.GNU-stack","",@progbits
	.addrsig
	.addrsig_sym __hip_cuid_e18558a6e7fbdabe
	.amdgpu_metadata
---
amdhsa.kernels:
  - .args:
      - .actual_access:  read_only
        .address_space:  global
        .offset:         0
        .size:           8
        .value_kind:     global_buffer
      - .actual_access:  read_only
        .address_space:  global
        .offset:         8
        .size:           8
        .value_kind:     global_buffer
      - .actual_access:  read_only
        .address_space:  global
        .offset:         16
        .size:           8
        .value_kind:     global_buffer
      - .actual_access:  read_only
        .address_space:  global
        .offset:         24
        .size:           8
        .value_kind:     global_buffer
      - .actual_access:  read_only
        .address_space:  global
        .offset:         32
        .size:           8
        .value_kind:     global_buffer
      - .offset:         40
        .size:           8
        .value_kind:     by_value
      - .address_space:  global
        .offset:         48
        .size:           8
        .value_kind:     global_buffer
      - .address_space:  global
        .offset:         56
        .size:           8
        .value_kind:     global_buffer
      - .address_space:  global
        .offset:         64
        .size:           8
        .value_kind:     global_buffer
      - .address_space:  global
        .offset:         72
        .size:           8
        .value_kind:     global_buffer
      - .offset:         80
        .size:           4
        .value_kind:     by_value
      - .address_space:  global
        .offset:         88
        .size:           8
        .value_kind:     global_buffer
      - .address_space:  global
        .offset:         96
        .size:           8
        .value_kind:     global_buffer
    .group_segment_fixed_size: 23400
    .kernarg_segment_align: 8
    .kernarg_segment_size: 104
    .language:       OpenCL C
    .language_version:
      - 2
      - 0
    .max_flat_workgroup_size: 117
    .name:           bluestein_single_back_len975_dim1_sp_op_CI_CI
    .private_segment_fixed_size: 128
    .sgpr_count:     22
    .sgpr_spill_count: 0
    .symbol:         bluestein_single_back_len975_dim1_sp_op_CI_CI.kd
    .uniform_work_group_size: 1
    .uses_dynamic_stack: false
    .vgpr_count:     256
    .vgpr_spill_count: 31
    .wavefront_size: 32
    .workgroup_processor_mode: 1
amdhsa.target:   amdgcn-amd-amdhsa--gfx1030
amdhsa.version:
  - 1
  - 2
...

	.end_amdgpu_metadata
